;; amdgpu-corpus repo=ROCm/rocFFT kind=compiled arch=gfx950 opt=O3
	.text
	.amdgcn_target "amdgcn-amd-amdhsa--gfx950"
	.amdhsa_code_object_version 6
	.protected	fft_rtc_back_len2002_factors_2_13_7_11_wgs_182_tpt_182_halfLds_dp_ip_CI_unitstride_sbrr_R2C_dirReg ; -- Begin function fft_rtc_back_len2002_factors_2_13_7_11_wgs_182_tpt_182_halfLds_dp_ip_CI_unitstride_sbrr_R2C_dirReg
	.globl	fft_rtc_back_len2002_factors_2_13_7_11_wgs_182_tpt_182_halfLds_dp_ip_CI_unitstride_sbrr_R2C_dirReg
	.p2align	8
	.type	fft_rtc_back_len2002_factors_2_13_7_11_wgs_182_tpt_182_halfLds_dp_ip_CI_unitstride_sbrr_R2C_dirReg,@function
fft_rtc_back_len2002_factors_2_13_7_11_wgs_182_tpt_182_halfLds_dp_ip_CI_unitstride_sbrr_R2C_dirReg: ; @fft_rtc_back_len2002_factors_2_13_7_11_wgs_182_tpt_182_halfLds_dp_ip_CI_unitstride_sbrr_R2C_dirReg
; %bb.0:
	s_load_dwordx2 s[8:9], s[0:1], 0x50
	s_load_dwordx4 s[4:7], s[0:1], 0x0
	s_load_dwordx2 s[10:11], s[0:1], 0x18
	v_mul_u32_u24_e32 v1, 0x169, v0
	v_add_u32_sdwa v6, s2, v1 dst_sel:DWORD dst_unused:UNUSED_PAD src0_sel:DWORD src1_sel:WORD_1
	v_mov_b32_e32 v4, 0
	s_waitcnt lgkmcnt(0)
	v_cmp_lt_u64_e64 s[2:3], s[6:7], 2
	v_mov_b32_e32 v7, v4
	s_and_b64 vcc, exec, s[2:3]
	v_mov_b64_e32 v[2:3], 0
	s_cbranch_vccnz .LBB0_8
; %bb.1:
	s_load_dwordx2 s[2:3], s[0:1], 0x10
	s_add_u32 s12, s10, 8
	s_addc_u32 s13, s11, 0
	s_mov_b64 s[14:15], 1
	v_mov_b64_e32 v[2:3], 0
	s_waitcnt lgkmcnt(0)
	s_add_u32 s16, s2, 8
	s_addc_u32 s17, s3, 0
.LBB0_2:                                ; =>This Inner Loop Header: Depth=1
	s_load_dwordx2 s[18:19], s[16:17], 0x0
                                        ; implicit-def: $vgpr8_vgpr9
	s_waitcnt lgkmcnt(0)
	v_or_b32_e32 v5, s19, v7
	v_cmp_ne_u64_e32 vcc, 0, v[4:5]
	s_and_saveexec_b64 s[2:3], vcc
	s_xor_b64 s[20:21], exec, s[2:3]
	s_cbranch_execz .LBB0_4
; %bb.3:                                ;   in Loop: Header=BB0_2 Depth=1
	v_cvt_f32_u32_e32 v1, s18
	v_cvt_f32_u32_e32 v5, s19
	s_sub_u32 s2, 0, s18
	s_subb_u32 s3, 0, s19
	v_fmac_f32_e32 v1, 0x4f800000, v5
	v_rcp_f32_e32 v1, v1
	s_nop 0
	v_mul_f32_e32 v1, 0x5f7ffffc, v1
	v_mul_f32_e32 v5, 0x2f800000, v1
	v_trunc_f32_e32 v5, v5
	v_fmac_f32_e32 v1, 0xcf800000, v5
	v_cvt_u32_f32_e32 v5, v5
	v_cvt_u32_f32_e32 v1, v1
	v_mul_lo_u32 v8, s2, v5
	v_mul_hi_u32 v10, s2, v1
	v_mul_lo_u32 v9, s3, v1
	v_add_u32_e32 v10, v10, v8
	v_mul_lo_u32 v12, s2, v1
	v_add_u32_e32 v13, v10, v9
	v_mul_hi_u32 v8, v1, v12
	v_mul_hi_u32 v11, v1, v13
	v_mul_lo_u32 v10, v1, v13
	v_mov_b32_e32 v9, v4
	v_lshl_add_u64 v[8:9], v[8:9], 0, v[10:11]
	v_mul_hi_u32 v11, v5, v12
	v_mul_lo_u32 v12, v5, v12
	v_add_co_u32_e32 v8, vcc, v8, v12
	v_mul_hi_u32 v10, v5, v13
	s_nop 0
	v_addc_co_u32_e32 v8, vcc, v9, v11, vcc
	v_mov_b32_e32 v9, v4
	s_nop 0
	v_addc_co_u32_e32 v11, vcc, 0, v10, vcc
	v_mul_lo_u32 v10, v5, v13
	v_lshl_add_u64 v[8:9], v[8:9], 0, v[10:11]
	v_add_co_u32_e32 v1, vcc, v1, v8
	v_mul_lo_u32 v10, s2, v1
	s_nop 0
	v_addc_co_u32_e32 v5, vcc, v5, v9, vcc
	v_mul_lo_u32 v8, s2, v5
	v_mul_hi_u32 v9, s2, v1
	v_add_u32_e32 v8, v9, v8
	v_mul_lo_u32 v9, s3, v1
	v_add_u32_e32 v12, v8, v9
	v_mul_hi_u32 v14, v5, v10
	v_mul_lo_u32 v15, v5, v10
	v_mul_hi_u32 v9, v1, v12
	v_mul_lo_u32 v8, v1, v12
	v_mul_hi_u32 v10, v1, v10
	v_mov_b32_e32 v11, v4
	v_lshl_add_u64 v[8:9], v[10:11], 0, v[8:9]
	v_add_co_u32_e32 v8, vcc, v8, v15
	v_mul_hi_u32 v13, v5, v12
	s_nop 0
	v_addc_co_u32_e32 v8, vcc, v9, v14, vcc
	v_mul_lo_u32 v10, v5, v12
	s_nop 0
	v_addc_co_u32_e32 v11, vcc, 0, v13, vcc
	v_mov_b32_e32 v9, v4
	v_lshl_add_u64 v[8:9], v[8:9], 0, v[10:11]
	v_add_co_u32_e32 v1, vcc, v1, v8
	v_mul_hi_u32 v10, v6, v1
	s_nop 0
	v_addc_co_u32_e32 v5, vcc, v5, v9, vcc
	v_mad_u64_u32 v[8:9], s[2:3], v6, v5, 0
	v_mov_b32_e32 v11, v4
	v_lshl_add_u64 v[8:9], v[10:11], 0, v[8:9]
	v_mad_u64_u32 v[12:13], s[2:3], v7, v1, 0
	v_add_co_u32_e32 v1, vcc, v8, v12
	v_mad_u64_u32 v[10:11], s[2:3], v7, v5, 0
	s_nop 0
	v_addc_co_u32_e32 v8, vcc, v9, v13, vcc
	v_mov_b32_e32 v9, v4
	s_nop 0
	v_addc_co_u32_e32 v11, vcc, 0, v11, vcc
	v_lshl_add_u64 v[8:9], v[8:9], 0, v[10:11]
	v_mul_lo_u32 v1, s19, v8
	v_mul_lo_u32 v5, s18, v9
	v_mad_u64_u32 v[10:11], s[2:3], s18, v8, 0
	v_add3_u32 v1, v11, v5, v1
	v_sub_u32_e32 v5, v7, v1
	v_mov_b32_e32 v11, s19
	v_sub_co_u32_e32 v14, vcc, v6, v10
	v_lshl_add_u64 v[12:13], v[8:9], 0, 1
	s_nop 0
	v_subb_co_u32_e64 v5, s[2:3], v5, v11, vcc
	v_subrev_co_u32_e64 v10, s[2:3], s18, v14
	v_subb_co_u32_e32 v1, vcc, v7, v1, vcc
	s_nop 0
	v_subbrev_co_u32_e64 v5, s[2:3], 0, v5, s[2:3]
	v_cmp_le_u32_e64 s[2:3], s19, v5
	v_cmp_le_u32_e32 vcc, s19, v1
	s_nop 0
	v_cndmask_b32_e64 v11, 0, -1, s[2:3]
	v_cmp_le_u32_e64 s[2:3], s18, v10
	s_nop 1
	v_cndmask_b32_e64 v10, 0, -1, s[2:3]
	v_cmp_eq_u32_e64 s[2:3], s19, v5
	s_nop 1
	v_cndmask_b32_e64 v5, v11, v10, s[2:3]
	v_lshl_add_u64 v[10:11], v[8:9], 0, 2
	v_cmp_ne_u32_e64 s[2:3], 0, v5
	s_nop 1
	v_cndmask_b32_e64 v5, v13, v11, s[2:3]
	v_cndmask_b32_e64 v11, 0, -1, vcc
	v_cmp_le_u32_e32 vcc, s18, v14
	s_nop 1
	v_cndmask_b32_e64 v13, 0, -1, vcc
	v_cmp_eq_u32_e32 vcc, s19, v1
	s_nop 1
	v_cndmask_b32_e32 v1, v11, v13, vcc
	v_cmp_ne_u32_e32 vcc, 0, v1
	v_cndmask_b32_e64 v1, v12, v10, s[2:3]
	s_nop 0
	v_cndmask_b32_e32 v9, v9, v5, vcc
	v_cndmask_b32_e32 v8, v8, v1, vcc
.LBB0_4:                                ;   in Loop: Header=BB0_2 Depth=1
	s_andn2_saveexec_b64 s[2:3], s[20:21]
	s_cbranch_execz .LBB0_6
; %bb.5:                                ;   in Loop: Header=BB0_2 Depth=1
	v_cvt_f32_u32_e32 v1, s18
	s_sub_i32 s20, 0, s18
	v_rcp_iflag_f32_e32 v1, v1
	s_nop 0
	v_mul_f32_e32 v1, 0x4f7ffffe, v1
	v_cvt_u32_f32_e32 v1, v1
	v_mul_lo_u32 v5, s20, v1
	v_mul_hi_u32 v5, v1, v5
	v_add_u32_e32 v1, v1, v5
	v_mul_hi_u32 v1, v6, v1
	v_mul_lo_u32 v5, v1, s18
	v_sub_u32_e32 v5, v6, v5
	v_add_u32_e32 v8, 1, v1
	v_subrev_u32_e32 v9, s18, v5
	v_cmp_le_u32_e32 vcc, s18, v5
	s_nop 1
	v_cndmask_b32_e32 v5, v5, v9, vcc
	v_cndmask_b32_e32 v1, v1, v8, vcc
	v_add_u32_e32 v8, 1, v1
	v_cmp_le_u32_e32 vcc, s18, v5
	v_mov_b32_e32 v9, v4
	s_nop 0
	v_cndmask_b32_e32 v8, v1, v8, vcc
.LBB0_6:                                ;   in Loop: Header=BB0_2 Depth=1
	s_or_b64 exec, exec, s[2:3]
	v_mad_u64_u32 v[10:11], s[2:3], v8, s18, 0
	s_load_dwordx2 s[2:3], s[12:13], 0x0
	v_mul_lo_u32 v1, v9, s18
	v_mul_lo_u32 v5, v8, s19
	v_add3_u32 v1, v11, v5, v1
	v_sub_co_u32_e32 v5, vcc, v6, v10
	s_add_u32 s14, s14, 1
	s_nop 0
	v_subb_co_u32_e32 v1, vcc, v7, v1, vcc
	s_addc_u32 s15, s15, 0
	s_waitcnt lgkmcnt(0)
	v_mul_lo_u32 v1, s2, v1
	v_mul_lo_u32 v6, s3, v5
	v_mad_u64_u32 v[2:3], s[2:3], s2, v5, v[2:3]
	s_add_u32 s12, s12, 8
	v_add3_u32 v3, v6, v3, v1
	s_addc_u32 s13, s13, 0
	v_mov_b64_e32 v[6:7], s[6:7]
	s_add_u32 s16, s16, 8
	v_cmp_ge_u64_e32 vcc, s[14:15], v[6:7]
	s_addc_u32 s17, s17, 0
	s_cbranch_vccnz .LBB0_9
; %bb.7:                                ;   in Loop: Header=BB0_2 Depth=1
	v_mov_b64_e32 v[6:7], v[8:9]
	s_branch .LBB0_2
.LBB0_8:
	v_mov_b64_e32 v[8:9], v[6:7]
.LBB0_9:
	s_lshl_b64 s[2:3], s[6:7], 3
	s_add_u32 s2, s10, s2
	s_addc_u32 s3, s11, s3
	s_load_dwordx2 s[6:7], s[2:3], 0x0
	s_load_dwordx2 s[10:11], s[0:1], 0x20
	s_mov_b32 s2, 0x1681682
                                        ; implicit-def: $vgpr62
                                        ; implicit-def: $vgpr68
                                        ; implicit-def: $agpr6
                                        ; implicit-def: $agpr4
                                        ; implicit-def: $agpr2
	s_waitcnt lgkmcnt(0)
	v_mul_lo_u32 v1, s6, v9
	v_mul_lo_u32 v4, s7, v8
	v_mad_u64_u32 v[2:3], s[0:1], s6, v8, v[2:3]
	v_add3_u32 v3, v4, v3, v1
	v_mul_hi_u32 v1, v0, s2
	v_mul_u32_u24_e32 v1, 0xb6, v1
	v_cmp_gt_u64_e64 s[0:1], s[10:11], v[8:9]
	v_cmp_le_u64_e32 vcc, s[10:11], v[8:9]
	v_sub_u32_e32 v56, v0, v1
	s_and_saveexec_b64 s[2:3], vcc
	s_xor_b64 s[2:3], exec, s[2:3]
; %bb.10:
	v_add_u32_e32 v0, 0x222, v56
	v_accvgpr_write_b32 a6, v0
	v_add_u32_e32 v0, 0x2d8, v56
	v_accvgpr_write_b32 a4, v0
	v_add_u32_e32 v0, 0x38e, v56
	v_add_u32_e32 v62, 0xb6, v56
	;; [unrolled: 1-line block ×3, first 2 shown]
	v_accvgpr_write_b32 a2, v0
; %bb.11:
	s_or_saveexec_b64 s[2:3], s[2:3]
	v_lshl_add_u64 v[0:1], v[2:3], 4, s[8:9]
	v_accvgpr_write_b32 a0, v0
	v_accvgpr_write_b32 a1, v1
	s_xor_b64 exec, exec, s[2:3]
	s_cbranch_execz .LBB0_13
; %bb.12:
	v_accvgpr_read_b32 v0, a0
	v_mov_b32_e32 v57, 0
	v_accvgpr_read_b32 v1, a1
	v_lshl_add_u64 v[40:41], v[56:57], 4, v[0:1]
	v_add_co_u32_e32 v16, vcc, 0x1000, v40
	global_load_dwordx4 v[0:3], v[40:41], off
	global_load_dwordx4 v[4:7], v[40:41], off offset:2912
	v_addc_co_u32_e32 v17, vcc, 0, v41, vcc
	v_add_co_u32_e32 v24, vcc, 0x2000, v40
	v_add_u32_e32 v46, 0x222, v56
	s_nop 0
	v_addc_co_u32_e32 v25, vcc, 0, v41, vcc
	v_add_co_u32_e32 v26, vcc, 0x3000, v40
	global_load_dwordx4 v[8:11], v[16:17], off offset:1728
	global_load_dwordx4 v[12:15], v[24:25], off offset:544
	v_addc_co_u32_e32 v27, vcc, 0, v41, vcc
	v_add_co_u32_e32 v32, vcc, 0x4000, v40
	global_load_dwordx4 v[16:19], v[24:25], off offset:3456
	global_load_dwordx4 v[20:23], v[26:27], off offset:2272
	;; [unrolled: 4-line block ×3, first 2 shown]
	v_addc_co_u32_e32 v43, vcc, 0, v41, vcc
	v_add_co_u32_e32 v44, vcc, 0x6000, v40
	v_accvgpr_write_b32 a6, v46
	s_nop 0
	v_addc_co_u32_e32 v45, vcc, 0, v41, vcc
	global_load_dwordx4 v[32:35], v[42:43], off offset:2816
	global_load_dwordx4 v[36:39], v[44:45], off offset:1632
	v_add_co_u32_e32 v40, vcc, 0x7000, v40
	v_add_u32_e32 v46, 0x2d8, v56
	s_nop 0
	v_addc_co_u32_e32 v41, vcc, 0, v41, vcc
	global_load_dwordx4 v[40:43], v[40:41], off offset:448
	v_accvgpr_write_b32 a4, v46
	v_add_u32_e32 v46, 0x38e, v56
	v_lshl_add_u32 v44, v56, 4, 0
	v_add_u32_e32 v62, 0xb6, v56
	v_add_u32_e32 v68, 0x16c, v56
	v_accvgpr_write_b32 a2, v46
	s_waitcnt vmcnt(10)
	ds_write_b128 v44, v[0:3]
	s_waitcnt vmcnt(9)
	ds_write_b128 v44, v[4:7] offset:2912
	s_waitcnt vmcnt(8)
	ds_write_b128 v44, v[8:11] offset:5824
	s_waitcnt vmcnt(7)
	ds_write_b128 v44, v[12:15] offset:8736
	s_waitcnt vmcnt(6)
	ds_write_b128 v44, v[16:19] offset:11648
	s_waitcnt vmcnt(5)
	ds_write_b128 v44, v[20:23] offset:14560
	s_waitcnt vmcnt(4)
	ds_write_b128 v44, v[24:27] offset:17472
	s_waitcnt vmcnt(3)
	ds_write_b128 v44, v[28:31] offset:20384
	s_waitcnt vmcnt(2)
	ds_write_b128 v44, v[32:35] offset:23296
	s_waitcnt vmcnt(1)
	ds_write_b128 v44, v[36:39] offset:26208
	s_waitcnt vmcnt(0)
	ds_write_b128 v44, v[40:43] offset:29120
.LBB0_13:
	s_or_b64 exec, exec, s[2:3]
	v_lshlrev_b32_e32 v57, 4, v56
	v_add_u32_e32 v60, 0, v57
	s_waitcnt lgkmcnt(0)
	s_barrier
	ds_read_b128 v[0:3], v60
	ds_read_b128 v[8:11], v60 offset:2912
	ds_read_b128 v[4:7], v60 offset:16016
	;; [unrolled: 1-line block ×9, first 2 shown]
	s_waitcnt lgkmcnt(7)
	v_add_f64 v[4:5], v[0:1], -v[4:5]
	v_add_f64 v[6:7], v[2:3], -v[6:7]
	v_fma_f64 v[0:1], v[0:1], 2.0, -v[4:5]
	v_fma_f64 v[2:3], v[2:3], 2.0, -v[6:7]
	s_waitcnt lgkmcnt(6)
	v_add_f64 v[12:13], v[8:9], -v[12:13]
	v_add_f64 v[14:15], v[10:11], -v[14:15]
	ds_read_b128 v[36:39], v60 offset:27664
	ds_read_b128 v[44:47], v60 offset:30576
	v_add_u32_e32 v48, v60, v57
	v_fma_f64 v[8:9], v[8:9], 2.0, -v[12:13]
	v_fma_f64 v[10:11], v[10:11], 2.0, -v[14:15]
	s_waitcnt lgkmcnt(5)
	v_add_f64 v[20:21], v[16:17], -v[20:21]
	v_add_f64 v[22:23], v[18:19], -v[22:23]
	s_waitcnt lgkmcnt(0)
	s_barrier
	ds_write_b128 v48, v[0:3]
	ds_write_b128 v48, v[4:7] offset:16
	v_lshl_add_u32 v48, v62, 5, 0
	v_fma_f64 v[16:17], v[16:17], 2.0, -v[20:21]
	v_fma_f64 v[18:19], v[18:19], 2.0, -v[22:23]
	ds_write_b128 v48, v[8:11]
	ds_write_b128 v48, v[12:15] offset:16
	v_lshl_add_u32 v48, v68, 5, 0
	v_add_f64 v[28:29], v[24:25], -v[28:29]
	v_add_f64 v[30:31], v[26:27], -v[30:31]
	ds_write_b128 v48, v[16:19]
	ds_write_b128 v48, v[20:23] offset:16
	v_accvgpr_read_b32 v48, a6
	v_fma_f64 v[24:25], v[24:25], 2.0, -v[28:29]
	v_fma_f64 v[26:27], v[26:27], 2.0, -v[30:31]
	v_lshl_add_u32 v48, v48, 5, 0
	v_add_f64 v[36:37], v[32:33], -v[36:37]
	v_add_f64 v[38:39], v[34:35], -v[38:39]
	;; [unrolled: 1-line block ×4, first 2 shown]
	ds_write_b128 v48, v[24:27]
	ds_write_b128 v48, v[28:31] offset:16
	v_accvgpr_read_b32 v48, a4
	s_movk_i32 s2, 0x5b
	v_fma_f64 v[32:33], v[32:33], 2.0, -v[36:37]
	v_fma_f64 v[34:35], v[34:35], 2.0, -v[38:39]
	;; [unrolled: 1-line block ×4, first 2 shown]
	v_lshl_add_u32 v48, v48, 5, 0
	v_cmp_gt_u32_e32 vcc, s2, v56
	ds_write_b128 v48, v[32:35]
	ds_write_b128 v48, v[36:39] offset:16
	s_and_saveexec_b64 s[2:3], vcc
	s_cbranch_execz .LBB0_15
; %bb.14:
	v_accvgpr_read_b32 v48, a2
	v_lshl_add_u32 v48, v48, 5, 0
	ds_write_b128 v48, v[40:43]
	ds_write_b128 v48, v[44:47] offset:16
.LBB0_15:
	s_or_b64 exec, exec, s[2:3]
	s_movk_i32 s2, 0x9a
	v_cmp_gt_u32_e64 s[2:3], s2, v56
	s_waitcnt lgkmcnt(0)
	s_barrier
	s_waitcnt lgkmcnt(0)
                                        ; implicit-def: $vgpr50_vgpr51
	s_and_saveexec_b64 s[6:7], s[2:3]
	s_cbranch_execz .LBB0_17
; %bb.16:
	ds_read_b128 v[0:3], v60
	ds_read_b128 v[4:7], v60 offset:2464
	ds_read_b128 v[8:11], v60 offset:4928
	;; [unrolled: 1-line block ×12, first 2 shown]
.LBB0_17:
	s_or_b64 exec, exec, s[6:7]
	v_and_b32_e32 v61, 1, v56
	v_mul_u32_u24_e32 v52, 12, v61
	v_lshlrev_b32_e32 v58, 4, v52
	global_load_dwordx4 v[52:55], v58, s[4:5]
	global_load_dwordx4 v[92:95], v58, s[4:5] offset:16
	global_load_dwordx4 v[96:99], v58, s[4:5] offset:32
	;; [unrolled: 1-line block ×11, first 2 shown]
	s_mov_b32 s6, 0xe00740e9
	s_mov_b32 s12, 0x4267c47c
	;; [unrolled: 1-line block ×36, first 2 shown]
	s_waitcnt lgkmcnt(0)
	s_barrier
	s_waitcnt vmcnt(11)
	v_mul_f64 v[70:71], v[6:7], v[54:55]
	v_mul_f64 v[58:59], v[4:5], v[54:55]
	s_waitcnt vmcnt(10)
	v_mul_f64 v[54:55], v[10:11], v[94:95]
	v_mul_f64 v[94:95], v[8:9], v[94:95]
	s_waitcnt vmcnt(9)
	v_mul_f64 v[72:73], v[14:15], v[98:99]
	v_fmac_f64_e32 v[70:71], v[4:5], v[52:53]
	s_waitcnt vmcnt(5)
	v_mul_f64 v[80:81], v[30:31], v[114:115]
	s_waitcnt vmcnt(4)
	v_mul_f64 v[82:83], v[34:35], v[118:119]
	v_mul_f64 v[118:119], v[32:33], v[118:119]
	s_waitcnt vmcnt(2)
	v_mul_f64 v[86:87], v[42:43], v[126:127]
	;; [unrolled: 3-line block ×3, first 2 shown]
	v_mul_f64 v[134:135], v[48:49], v[134:135]
	v_mul_f64 v[122:123], v[36:37], v[122:123]
	;; [unrolled: 1-line block ×5, first 2 shown]
	v_fma_f64 v[52:53], v[6:7], v[52:53], -v[58:59]
	v_fmac_f64_e32 v[86:87], v[40:41], v[124:125]
	v_fma_f64 v[40:41], v[50:51], v[132:133], -v[134:135]
	v_mul_f64 v[98:99], v[12:13], v[98:99]
	v_mul_f64 v[74:75], v[18:19], v[102:103]
	;; [unrolled: 1-line block ×6, first 2 shown]
	v_fmac_f64_e32 v[54:55], v[8:9], v[92:93]
	v_fma_f64 v[92:93], v[10:11], v[92:93], -v[94:95]
	v_fmac_f64_e32 v[72:73], v[12:13], v[96:97]
	v_fmac_f64_e32 v[80:81], v[28:29], v[112:113]
	;; [unrolled: 1-line block ×3, first 2 shown]
	v_fma_f64 v[32:33], v[34:35], v[116:117], -v[118:119]
	v_fma_f64 v[34:35], v[38:39], v[120:121], -v[122:123]
	;; [unrolled: 1-line block ×3, first 2 shown]
	v_fmac_f64_e32 v[90:91], v[48:49], v[132:133]
	v_add_f64 v[12:13], v[52:53], -v[40:41]
	v_add_f64 v[28:29], v[52:53], v[40:41]
	v_fma_f64 v[94:95], v[14:15], v[96:97], -v[98:99]
	v_fma_f64 v[96:97], v[18:19], v[100:101], -v[102:103]
	;; [unrolled: 1-line block ×4, first 2 shown]
	v_fmac_f64_e32 v[84:85], v[36:37], v[120:121]
	v_fma_f64 v[36:37], v[42:43], v[124:125], -v[126:127]
	v_fmac_f64_e32 v[88:89], v[44:45], v[128:129]
	v_add_f64 v[106:107], v[70:71], v[90:91]
	v_add_f64 v[14:15], v[92:93], -v[38:39]
	v_add_f64 v[120:121], v[70:71], -v[90:91]
	v_add_f64 v[30:31], v[92:93], v[38:39]
	v_mul_f64 v[42:43], v[12:13], s[12:13]
	v_mul_f64 v[46:47], v[28:29], s[6:7]
	v_add_f64 v[112:113], v[54:55], v[88:89]
	v_add_f64 v[116:117], v[54:55], -v[88:89]
	v_mul_f64 v[44:45], v[14:15], s[10:11]
	v_mul_f64 v[48:49], v[30:31], s[8:9]
	v_fma_f64 v[4:5], v[106:107], s[6:7], -v[42:43]
	v_fma_f64 v[8:9], s[12:13], v[120:121], v[46:47]
	v_add_f64 v[206:207], v[94:95], -v[36:37]
	v_fma_f64 v[6:7], v[112:113], s[8:9], -v[44:45]
	v_fma_f64 v[10:11], s[10:11], v[116:117], v[48:49]
	v_add_f64 v[4:5], v[0:1], v[4:5]
	v_add_f64 v[8:9], v[2:3], v[8:9]
	;; [unrolled: 1-line block ×3, first 2 shown]
	v_mul_f64 v[50:51], v[206:207], s[16:17]
	v_add_f64 v[208:209], v[94:95], v[36:37]
	v_mul_f64 v[78:79], v[26:27], v[110:111]
	v_mul_f64 v[110:111], v[24:25], v[110:111]
	v_fmac_f64_e32 v[74:75], v[16:17], v[100:101]
	v_fmac_f64_e32 v[76:77], v[20:21], v[104:105]
	v_add_f64 v[4:5], v[6:7], v[4:5]
	v_add_f64 v[6:7], v[10:11], v[8:9]
	v_fma_f64 v[8:9], v[122:123], s[14:15], -v[50:51]
	v_add_f64 v[126:127], v[72:73], -v[86:87]
	v_mul_f64 v[104:105], v[208:209], s[14:15]
	v_add_f64 v[218:219], v[96:97], -v[34:35]
	v_fmac_f64_e32 v[78:79], v[24:25], v[108:109]
	v_fma_f64 v[100:101], v[26:27], v[108:109], -v[110:111]
	v_add_f64 v[4:5], v[8:9], v[4:5]
	v_fma_f64 v[8:9], s[16:17], v[126:127], v[104:105]
	v_add_f64 v[128:129], v[74:75], v[84:85]
	v_mul_f64 v[108:109], v[218:219], s[22:23]
	v_add_f64 v[220:221], v[96:97], v[34:35]
	v_add_f64 v[6:7], v[8:9], v[6:7]
	v_fma_f64 v[8:9], v[128:129], s[24:25], -v[108:109]
	v_add_f64 v[132:133], v[74:75], -v[84:85]
	v_mul_f64 v[110:111], v[220:221], s[24:25]
	v_add_f64 v[58:59], v[98:99], -v[32:33]
	v_add_f64 v[4:5], v[8:9], v[4:5]
	v_fma_f64 v[8:9], s[22:23], v[132:133], v[110:111]
	v_add_f64 v[140:141], v[76:77], v[82:83]
	v_mul_f64 v[114:115], v[58:59], s[20:21]
	v_add_f64 v[254:255], v[98:99], v[32:33]
	v_add_f64 v[6:7], v[8:9], v[6:7]
	v_fma_f64 v[8:9], v[140:141], s[18:19], -v[114:115]
	v_add_f64 v[144:145], v[76:77], -v[82:83]
	v_mul_f64 v[118:119], v[254:255], s[18:19]
	v_add_f64 v[64:65], v[100:101], -v[102:103]
	v_add_f64 v[4:5], v[8:9], v[4:5]
	v_fma_f64 v[8:9], s[20:21], v[144:145], v[118:119]
	v_add_f64 v[158:159], v[78:79], v[80:81]
	v_mul_f64 v[124:125], v[64:65], s[26:27]
	v_add_f64 v[66:67], v[100:101], v[102:103]
	v_add_f64 v[6:7], v[8:9], v[6:7]
	v_fma_f64 v[8:9], v[158:159], s[28:29], -v[124:125]
	v_add_f64 v[162:163], v[78:79], -v[80:81]
	v_mul_f64 v[130:131], v[66:67], s[28:29]
	v_add_f64 v[4:5], v[8:9], v[4:5]
	v_fma_f64 v[8:9], s[26:27], v[162:163], v[130:131]
	v_mul_f64 v[134:135], v[12:13], s[10:11]
	v_add_f64 v[6:7], v[8:9], v[6:7]
	v_fma_f64 v[8:9], v[106:107], s[8:9], -v[134:135]
	v_mul_f64 v[136:137], v[14:15], s[22:23]
	v_add_f64 v[8:9], v[0:1], v[8:9]
	v_fma_f64 v[10:11], v[112:113], s[24:25], -v[136:137]
	v_mul_f64 v[142:143], v[28:29], s[8:9]
	v_add_f64 v[8:9], v[10:11], v[8:9]
	v_fma_f64 v[10:11], s[10:11], v[120:121], v[142:143]
	v_mul_f64 v[148:149], v[30:31], s[24:25]
	v_add_f64 v[10:11], v[2:3], v[10:11]
	v_fma_f64 v[16:17], s[22:23], v[116:117], v[148:149]
	v_mul_f64 v[138:139], v[206:207], s[26:27]
	v_add_f64 v[10:11], v[16:17], v[10:11]
	v_fma_f64 v[16:17], v[122:123], s[28:29], -v[138:139]
	v_mul_f64 v[150:151], v[208:209], s[28:29]
	v_add_f64 v[8:9], v[16:17], v[8:9]
	v_fma_f64 v[16:17], s[26:27], v[126:127], v[150:151]
	v_mul_f64 v[146:147], v[218:219], s[38:39]
	v_add_f64 v[10:11], v[16:17], v[10:11]
	v_fma_f64 v[16:17], v[128:129], s[18:19], -v[146:147]
	v_mul_f64 v[154:155], v[220:221], s[18:19]
	v_add_f64 v[8:9], v[16:17], v[8:9]
	v_fma_f64 v[16:17], s[38:39], v[132:133], v[154:155]
	v_mul_f64 v[152:153], v[58:59], s[36:37]
	v_add_f64 v[10:11], v[16:17], v[10:11]
	v_fma_f64 v[16:17], v[140:141], s[14:15], -v[152:153]
	v_mul_f64 v[160:161], v[254:255], s[14:15]
	v_add_f64 v[8:9], v[16:17], v[8:9]
	v_fma_f64 v[16:17], s[36:37], v[144:145], v[160:161]
	v_mul_f64 v[156:157], v[64:65], s[34:35]
	v_add_f64 v[10:11], v[16:17], v[10:11]
	v_fma_f64 v[16:17], v[158:159], s[6:7], -v[156:157]
	v_mul_f64 v[164:165], v[66:67], s[6:7]
	v_add_f64 v[8:9], v[16:17], v[8:9]
	v_fma_f64 v[16:17], s[34:35], v[162:163], v[164:165]
	v_mul_f64 v[166:167], v[12:13], s[16:17]
	v_add_f64 v[10:11], v[16:17], v[10:11]
	v_fma_f64 v[16:17], v[106:107], s[14:15], -v[166:167]
	v_mul_f64 v[168:169], v[14:15], s[26:27]
	v_add_f64 v[16:17], v[0:1], v[16:17]
	v_fma_f64 v[18:19], v[112:113], s[28:29], -v[168:169]
	v_mul_f64 v[172:173], v[28:29], s[14:15]
	v_add_f64 v[16:17], v[18:19], v[16:17]
	v_fma_f64 v[18:19], s[16:17], v[120:121], v[172:173]
	v_mul_f64 v[176:177], v[30:31], s[28:29]
	v_add_f64 v[18:19], v[2:3], v[18:19]
	v_fma_f64 v[20:21], s[26:27], v[116:117], v[176:177]
	v_mul_f64 v[170:171], v[206:207], s[40:41]
	v_add_f64 v[18:19], v[20:21], v[18:19]
	v_fma_f64 v[20:21], v[122:123], s[24:25], -v[170:171]
	v_mul_f64 v[180:181], v[208:209], s[24:25]
	v_add_f64 v[16:17], v[20:21], v[16:17]
	v_fma_f64 v[20:21], s[40:41], v[126:127], v[180:181]
	v_mul_f64 v[174:175], v[218:219], s[34:35]
	v_add_f64 v[18:19], v[20:21], v[18:19]
	v_fma_f64 v[20:21], v[128:129], s[6:7], -v[174:175]
	v_mul_f64 v[184:185], v[220:221], s[6:7]
	v_add_f64 v[16:17], v[20:21], v[16:17]
	v_fma_f64 v[20:21], s[34:35], v[132:133], v[184:185]
	v_mul_f64 v[178:179], v[58:59], s[10:11]
	v_add_f64 v[18:19], v[20:21], v[18:19]
	v_fma_f64 v[20:21], v[140:141], s[8:9], -v[178:179]
	v_mul_f64 v[186:187], v[254:255], s[8:9]
	v_add_f64 v[16:17], v[20:21], v[16:17]
	v_fma_f64 v[20:21], s[10:11], v[144:145], v[186:187]
	v_mul_f64 v[182:183], v[64:65], s[20:21]
	v_add_f64 v[18:19], v[20:21], v[18:19]
	v_fma_f64 v[20:21], v[158:159], s[18:19], -v[182:183]
	;; [unrolled: 36-line block ×3, first 2 shown]
	v_mul_f64 v[216:217], v[66:67], s[8:9]
	v_add_f64 v[20:21], v[24:25], v[20:21]
	v_fma_f64 v[24:25], s[44:45], v[162:163], v[216:217]
	v_mul_f64 v[222:223], v[12:13], s[20:21]
	v_add_f64 v[22:23], v[24:25], v[22:23]
	v_fma_f64 v[24:25], v[106:107], s[18:19], -v[222:223]
	v_mul_f64 v[224:225], v[14:15], s[36:37]
	v_add_f64 v[24:25], v[0:1], v[24:25]
	v_fma_f64 v[26:27], v[112:113], s[14:15], -v[224:225]
	v_mul_f64 v[232:233], v[28:29], s[18:19]
	v_add_f64 v[24:25], v[26:27], v[24:25]
	v_fma_f64 v[26:27], s[20:21], v[120:121], v[232:233]
	v_mul_f64 v[236:237], v[30:31], s[14:15]
	v_add_f64 v[26:27], v[2:3], v[26:27]
	v_fma_f64 v[226:227], s[36:37], v[116:117], v[236:237]
	v_add_f64 v[26:27], v[226:227], v[26:27]
	v_mul_f64 v[226:227], v[206:207], s[10:11]
	v_fma_f64 v[228:229], v[122:123], s[8:9], -v[226:227]
	v_mul_f64 v[238:239], v[208:209], s[8:9]
	v_add_f64 v[24:25], v[228:229], v[24:25]
	v_fma_f64 v[228:229], s[10:11], v[126:127], v[238:239]
	v_add_f64 v[26:27], v[228:229], v[26:27]
	v_mul_f64 v[228:229], v[218:219], s[42:43]
	v_fma_f64 v[230:231], v[128:129], s[28:29], -v[228:229]
	;; [unrolled: 6-line block ×4, first 2 shown]
	v_add_f64 v[24:25], v[244:245], v[24:25]
	v_mul_f64 v[244:245], v[66:67], s[24:25]
	v_fma_f64 v[246:247], s[22:23], v[162:163], v[244:245]
	v_add_f64 v[26:27], v[246:247], v[26:27]
	v_mul_f64 v[246:247], v[12:13], s[26:27]
	v_fma_f64 v[12:13], v[106:107], s[28:29], -v[246:247]
	v_mul_f64 v[248:249], v[14:15], s[34:35]
	v_add_f64 v[12:13], v[0:1], v[12:13]
	v_fma_f64 v[14:15], v[112:113], s[6:7], -v[248:249]
	v_mul_f64 v[250:251], v[28:29], s[28:29]
	v_add_f64 v[12:13], v[14:15], v[12:13]
	v_fma_f64 v[14:15], s[26:27], v[120:121], v[250:251]
	v_mul_f64 v[252:253], v[30:31], s[6:7]
	v_add_f64 v[14:15], v[2:3], v[14:15]
	v_fma_f64 v[28:29], s[34:35], v[116:117], v[252:253]
	v_add_f64 v[14:15], v[28:29], v[14:15]
	v_mul_f64 v[28:29], v[206:207], s[20:21]
	v_fma_f64 v[30:31], v[122:123], s[18:19], -v[28:29]
	v_mul_f64 v[206:207], v[208:209], s[18:19]
	v_add_f64 v[12:13], v[30:31], v[12:13]
	v_fma_f64 v[30:31], s[20:21], v[126:127], v[206:207]
	v_add_f64 v[14:15], v[30:31], v[14:15]
	v_mul_f64 v[30:31], v[218:219], s[44:45]
	v_fma_f64 v[208:209], v[128:129], s[8:9], -v[30:31]
	;; [unrolled: 6-line block ×3, first 2 shown]
	v_mul_f64 v[254:255], v[254:255], s[24:25]
	v_add_f64 v[12:13], v[58:59], v[12:13]
	v_fma_f64 v[58:59], s[22:23], v[144:145], v[254:255]
	v_mul_f64 v[218:219], v[64:65], s[36:37]
	v_add_f64 v[14:15], v[58:59], v[14:15]
	v_mul_f64 v[58:59], v[66:67], s[14:15]
	v_fma_f64 v[64:65], v[158:159], s[14:15], -v[218:219]
	v_add_f64 v[12:13], v[64:65], v[12:13]
	v_fma_f64 v[64:65], s[36:37], v[162:163], v[58:59]
	v_add_f64 v[14:15], v[64:65], v[14:15]
	s_and_saveexec_b64 s[30:31], s[2:3]
	s_cbranch_execz .LBB0_19
; %bb.18:
	v_mul_f64 v[66:67], v[132:133], s[44:45]
	v_add_f64 v[66:67], v[220:221], -v[66:67]
	v_mul_f64 v[220:221], v[126:127], s[20:21]
	v_add_f64 v[206:207], v[206:207], -v[220:221]
	;; [unrolled: 2-line block ×4, first 2 shown]
	v_add_f64 v[250:251], v[2:3], v[250:251]
	v_mul_f64 v[64:65], v[162:163], s[36:37]
	v_add_f64 v[220:221], v[220:221], v[250:251]
	v_add_f64 v[58:59], v[58:59], -v[64:65]
	v_mul_f64 v[64:65], v[144:145], s[22:23]
	v_add_f64 v[220:221], v[206:207], v[220:221]
	v_add_f64 v[64:65], v[254:255], -v[64:65]
	v_add_f64 v[66:67], v[66:67], v[220:221]
	v_add_f64 v[64:65], v[64:65], v[66:67]
	v_mul_f64 v[66:67], v[158:159], s[14:15]
	v_add_f64 v[66:67], v[66:67], v[218:219]
	v_mul_f64 v[218:219], v[140:141], s[24:25]
	;; [unrolled: 2-line block ×4, first 2 shown]
	v_mul_f64 v[220:221], v[106:107], s[28:29]
	v_add_f64 v[28:29], v[218:219], v[28:29]
	v_mul_f64 v[218:219], v[112:113], s[6:7]
	v_add_f64 v[220:221], v[220:221], v[246:247]
	v_add_f64 v[218:219], v[218:219], v[248:249]
	;; [unrolled: 1-line block ×8, first 2 shown]
	v_mul_f64 v[66:67], v[120:121], s[20:21]
	v_mul_f64 v[220:221], v[126:127], s[10:11]
	v_add_f64 v[220:221], v[238:239], -v[220:221]
	v_mul_f64 v[238:239], v[116:117], s[36:37]
	v_add_f64 v[66:67], v[232:233], -v[66:67]
	v_add_f64 v[236:237], v[236:237], -v[238:239]
	v_add_f64 v[66:67], v[2:3], v[66:67]
	v_add_f64 v[66:67], v[236:237], v[66:67]
	;; [unrolled: 1-line block ×3, first 2 shown]
	v_mul_f64 v[220:221], v[128:129], s[28:29]
	v_add_f64 v[30:31], v[58:59], v[64:65]
	v_mul_f64 v[64:65], v[106:107], s[18:19]
	v_add_f64 v[220:221], v[220:221], v[228:229]
	;; [unrolled: 2-line block ×5, first 2 shown]
	v_add_f64 v[64:65], v[0:1], v[64:65]
	v_mul_f64 v[250:251], v[120:121], s[12:13]
	v_mul_f64 v[248:249], v[120:121], s[10:11]
	;; [unrolled: 1-line block ×5, first 2 shown]
	v_add_f64 v[218:219], v[240:241], -v[218:219]
	v_add_f64 v[64:65], v[224:225], v[64:65]
	v_mul_f64 v[206:207], v[106:107], s[6:7]
	v_mul_f64 v[246:247], v[106:107], s[8:9]
	;; [unrolled: 1-line block ×5, first 2 shown]
	v_add_f64 v[120:121], v[242:243], -v[120:121]
	v_add_f64 v[66:67], v[218:219], v[66:67]
	v_mul_f64 v[218:219], v[140:141], s[6:7]
	v_add_f64 v[64:65], v[226:227], v[64:65]
	v_add_f64 v[106:107], v[244:245], -v[106:107]
	v_mul_f64 v[232:233], v[116:117], s[10:11]
	v_mul_f64 v[240:241], v[116:117], s[22:23]
	v_add_f64 v[66:67], v[120:121], v[66:67]
	v_mul_f64 v[120:121], v[158:159], s[24:25]
	v_add_f64 v[218:219], v[218:219], v[230:231]
	v_mul_f64 v[228:229], v[116:117], s[26:27]
	v_mul_f64 v[116:117], v[116:117], s[38:39]
	v_add_f64 v[64:65], v[220:221], v[64:65]
	v_add_f64 v[58:59], v[200:201], -v[58:59]
	v_add_f64 v[120:121], v[120:121], v[234:235]
	v_add_f64 v[64:65], v[218:219], v[64:65]
	;; [unrolled: 1-line block ×3, first 2 shown]
	v_mul_f64 v[106:107], v[126:127], s[34:35]
	v_add_f64 v[116:117], v[202:203], -v[116:117]
	v_add_f64 v[58:59], v[2:3], v[58:59]
	v_mul_f64 v[224:225], v[126:127], s[16:17]
	v_mul_f64 v[230:231], v[126:127], s[26:27]
	v_add_f64 v[218:219], v[120:121], v[64:65]
	v_mul_f64 v[64:65], v[126:127], s[40:41]
	v_mul_f64 v[126:127], v[132:133], s[16:17]
	v_add_f64 v[106:107], v[210:211], -v[106:107]
	v_add_f64 v[58:59], v[116:117], v[58:59]
	v_mul_f64 v[222:223], v[122:123], s[14:15]
	v_mul_f64 v[226:227], v[122:123], s[28:29]
	;; [unrolled: 1-line block ×5, first 2 shown]
	v_add_f64 v[126:127], v[212:213], -v[126:127]
	v_add_f64 v[58:59], v[106:107], v[58:59]
	v_add_f64 v[122:123], v[214:215], -v[122:123]
	v_add_f64 v[58:59], v[126:127], v[58:59]
	v_add_f64 v[58:59], v[122:123], v[58:59]
	v_mul_f64 v[122:123], v[158:159], s[8:9]
	v_add_f64 v[126:127], v[122:123], v[204:205]
	v_mul_f64 v[122:123], v[140:141], s[28:29]
	v_mul_f64 v[238:239], v[112:113], s[8:9]
	;; [unrolled: 1-line block ×5, first 2 shown]
	v_add_f64 v[198:199], v[122:123], v[198:199]
	v_add_f64 v[122:123], v[208:209], v[190:191]
	v_mul_f64 v[120:121], v[162:163], s[44:45]
	v_add_f64 v[112:113], v[112:113], v[192:193]
	v_add_f64 v[122:123], v[0:1], v[122:123]
	v_add_f64 v[120:121], v[216:217], -v[120:121]
	v_mul_f64 v[212:213], v[128:129], s[24:25]
	v_mul_f64 v[202:203], v[128:129], s[18:19]
	;; [unrolled: 1-line block ×4, first 2 shown]
	v_add_f64 v[66:67], v[66:67], v[194:195]
	v_add_f64 v[112:113], v[112:113], v[122:123]
	;; [unrolled: 1-line block ×7, first 2 shown]
	v_add_f64 v[128:129], v[172:173], -v[254:255]
	v_add_f64 v[120:121], v[126:127], v[58:59]
	v_add_f64 v[126:127], v[176:177], -v[228:229]
	v_add_f64 v[128:129], v[2:3], v[128:129]
	v_mul_f64 v[210:211], v[132:133], s[22:23]
	v_mul_f64 v[200:201], v[132:133], s[38:39]
	;; [unrolled: 1-line block ×3, first 2 shown]
	v_add_f64 v[64:65], v[180:181], -v[64:65]
	v_add_f64 v[126:127], v[126:127], v[128:129]
	v_mul_f64 v[214:215], v[144:145], s[20:21]
	v_mul_f64 v[196:197], v[144:145], s[36:37]
	;; [unrolled: 1-line block ×3, first 2 shown]
	v_add_f64 v[112:113], v[184:185], -v[132:133]
	v_add_f64 v[64:65], v[64:65], v[126:127]
	v_add_f64 v[66:67], v[186:187], -v[144:145]
	v_add_f64 v[64:65], v[112:113], v[64:65]
	v_add_f64 v[126:127], v[252:253], v[166:167]
	;; [unrolled: 1-line block ×8, first 2 shown]
	v_add_f64 v[132:133], v[142:143], -v[248:249]
	v_add_f64 v[112:113], v[112:113], v[116:117]
	v_add_f64 v[116:117], v[148:149], -v[240:241]
	v_add_f64 v[132:133], v[2:3], v[132:133]
	v_add_f64 v[116:117], v[116:117], v[132:133]
	;; [unrolled: 1-line block ×3, first 2 shown]
	v_add_f64 v[46:47], v[46:47], -v[250:251]
	v_add_f64 v[42:43], v[206:207], v[42:43]
	v_mul_f64 v[192:193], v[162:163], s[26:27]
	v_mul_f64 v[208:209], v[162:163], s[34:35]
	;; [unrolled: 1-line block ×3, first 2 shown]
	v_add_f64 v[132:133], v[0:1], v[132:133]
	v_add_f64 v[46:47], v[2:3], v[46:47]
	;; [unrolled: 1-line block ×5, first 2 shown]
	v_mul_f64 v[106:107], v[140:141], s[18:19]
	v_mul_f64 v[204:205], v[140:141], s[14:15]
	;; [unrolled: 1-line block ×3, first 2 shown]
	v_add_f64 v[58:59], v[188:189], -v[162:163]
	v_add_f64 v[2:3], v[2:3], v[92:93]
	v_add_f64 v[0:1], v[0:1], v[54:55]
	v_mul_f64 v[194:195], v[158:159], s[28:29]
	v_mul_f64 v[190:191], v[158:159], s[6:7]
	;; [unrolled: 1-line block ×3, first 2 shown]
	v_add_f64 v[128:129], v[58:59], v[64:65]
	v_add_f64 v[64:65], v[140:141], v[178:179]
	v_add_f64 v[66:67], v[66:67], v[112:113]
	v_add_f64 v[112:113], v[150:151], -v[230:231]
	v_add_f64 v[2:3], v[2:3], v[94:95]
	v_add_f64 v[0:1], v[0:1], v[72:73]
	v_add_f64 v[58:59], v[158:159], v[182:183]
	v_add_f64 v[64:65], v[64:65], v[66:67]
	v_add_f64 v[66:67], v[154:155], -v[200:201]
	v_add_f64 v[112:113], v[112:113], v[116:117]
	v_add_f64 v[116:117], v[236:237], v[136:137]
	v_add_f64 v[2:3], v[2:3], v[96:97]
	v_add_f64 v[0:1], v[0:1], v[74:75]
	v_add_f64 v[126:127], v[58:59], v[64:65]
	v_add_f64 v[64:65], v[160:161], -v[196:197]
	v_add_f64 v[66:67], v[66:67], v[112:113]
	;; [unrolled: 6-line block ×3, first 2 shown]
	v_add_f64 v[66:67], v[202:203], v[146:147]
	v_add_f64 v[112:113], v[112:113], v[116:117]
	v_add_f64 v[48:49], v[48:49], -v[232:233]
	v_add_f64 v[2:3], v[2:3], v[100:101]
	v_add_f64 v[0:1], v[0:1], v[78:79]
	v_add_f64 v[140:141], v[58:59], v[64:65]
	v_add_f64 v[64:65], v[204:205], v[152:153]
	v_add_f64 v[66:67], v[66:67], v[112:113]
	v_add_f64 v[104:105], v[104:105], -v[224:225]
	v_add_f64 v[46:47], v[48:49], v[46:47]
	v_add_f64 v[2:3], v[2:3], v[102:103]
	v_add_f64 v[0:1], v[0:1], v[80:81]
	;; [unrolled: 6-line block ×4, first 2 shown]
	v_add_f64 v[2:3], v[2:3], v[34:35]
	v_add_f64 v[0:1], v[0:1], v[84:85]
	v_lshrrev_b32_e32 v32, 1, v56
	v_add_f64 v[58:59], v[130:131], -v[192:193]
	v_add_f64 v[46:47], v[64:65], v[46:47]
	v_add_f64 v[64:65], v[212:213], v[108:109]
	;; [unrolled: 1-line block ×5, first 2 shown]
	v_mul_u32_u24_e32 v32, 26, v32
	v_add_f64 v[46:47], v[58:59], v[46:47]
	v_add_f64 v[58:59], v[106:107], v[114:115]
	;; [unrolled: 1-line block ×5, first 2 shown]
	v_or_b32_e32 v32, v32, v61
	v_add_f64 v[48:49], v[194:195], v[124:125]
	v_add_f64 v[42:43], v[58:59], v[42:43]
	;; [unrolled: 1-line block ×4, first 2 shown]
	v_lshl_add_u32 v32, v32, 4, 0
	v_add_f64 v[44:45], v[48:49], v[42:43]
	ds_write_b128 v32, v[0:3]
	ds_write_b128 v32, v[44:47] offset:32
	ds_write_b128 v32, v[138:141] offset:64
	;; [unrolled: 1-line block ×12, first 2 shown]
.LBB0_19:
	s_or_b64 exec, exec, s[30:31]
	s_waitcnt lgkmcnt(0)
	s_barrier
	ds_read_b128 v[28:31], v60
	ds_read_b128 v[52:55], v60 offset:4576
	ds_read_b128 v[48:51], v60 offset:9152
	;; [unrolled: 1-line block ×6, first 2 shown]
	s_movk_i32 s2, 0x68
	v_cmp_gt_u32_e64 s[2:3], s2, v56
	v_lshl_add_u32 v58, v62, 4, 0
                                        ; implicit-def: $vgpr2_vgpr3
	s_and_saveexec_b64 s[6:7], s[2:3]
	s_cbranch_execz .LBB0_21
; %bb.20:
	ds_read_b128 v[12:15], v58
	ds_read_b128 v[24:27], v60 offset:7488
	ds_read_b128 v[20:23], v60 offset:12064
	;; [unrolled: 1-line block ×6, first 2 shown]
.LBB0_21:
	s_or_b64 exec, exec, s[6:7]
	s_movk_i32 s6, 0x4f
	v_mul_lo_u16_sdwa v59, v56, s6 dst_sel:DWORD dst_unused:UNUSED_PAD src0_sel:BYTE_0 src1_sel:DWORD
	v_lshrrev_b16_e32 v59, 11, v59
	v_mul_lo_u16_e32 v61, 26, v59
	v_sub_u16_e32 v61, v56, v61
	v_mov_b32_e32 v63, 6
	v_mul_u32_u24_sdwa v63, v61, v63 dst_sel:DWORD dst_unused:UNUSED_PAD src0_sel:BYTE_0 src1_sel:DWORD
	v_lshlrev_b32_e32 v63, 4, v63
	global_load_dwordx4 v[70:73], v63, s[4:5] offset:384
	global_load_dwordx4 v[74:77], v63, s[4:5] offset:400
	;; [unrolled: 1-line block ×6, first 2 shown]
	s_mov_b32 s8, 0x37e14327
	s_mov_b32 s10, 0x36b3c0b5
	;; [unrolled: 1-line block ×19, first 2 shown]
	v_mov_b32_e32 v63, 4
	s_mov_b32 s19, 0xbfdc38aa
	v_mul_u32_u24_e32 v59, 0xb60, v59
	v_lshlrev_b32_sdwa v61, v63, v61 dst_sel:DWORD dst_unused:UNUSED_PAD src0_sel:DWORD src1_sel:BYTE_0
	v_add3_u32 v59, 0, v59, v61
	s_waitcnt lgkmcnt(0)
	s_barrier
	s_waitcnt vmcnt(5)
	v_mul_f64 v[64:65], v[54:55], v[72:73]
	v_mul_f64 v[66:67], v[52:53], v[72:73]
	s_waitcnt vmcnt(4)
	v_mul_f64 v[72:73], v[50:51], v[76:77]
	v_mul_f64 v[76:77], v[48:49], v[76:77]
	;; [unrolled: 3-line block ×4, first 2 shown]
	v_mul_f64 v[94:95], v[46:47], v[80:81]
	v_mul_f64 v[80:81], v[44:45], v[80:81]
	;; [unrolled: 1-line block ×4, first 2 shown]
	v_fmac_f64_e32 v[64:65], v[52:53], v[70:71]
	v_fma_f64 v[52:53], v[54:55], v[70:71], -v[66:67]
	v_fmac_f64_e32 v[72:73], v[48:49], v[74:75]
	v_fma_f64 v[48:49], v[50:51], v[74:75], -v[76:77]
	;; [unrolled: 2-line block ×6, first 2 shown]
	v_add_f64 v[34:35], v[64:65], v[100:101]
	v_add_f64 v[38:39], v[52:53], v[32:33]
	;; [unrolled: 1-line block ×4, first 2 shown]
	v_add_f64 v[36:37], v[48:49], -v[36:37]
	v_add_f64 v[48:49], v[94:95], v[96:97]
	v_add_f64 v[54:55], v[44:45], v[40:41]
	v_add_f64 v[40:41], v[40:41], -v[44:45]
	v_add_f64 v[44:45], v[46:47], v[34:35]
	v_add_f64 v[66:67], v[50:51], v[38:39]
	v_add_f64 v[42:43], v[64:65], -v[100:101]
	v_add_f64 v[32:33], v[52:53], -v[32:33]
	;; [unrolled: 1-line block ×7, first 2 shown]
	v_add_f64 v[44:45], v[48:49], v[44:45]
	v_add_f64 v[48:49], v[54:55], v[66:67]
	v_add_f64 v[72:73], v[50:51], -v[38:39]
	v_add_f64 v[38:39], v[38:39], -v[54:55]
	;; [unrolled: 1-line block ×3, first 2 shown]
	v_add_f64 v[74:75], v[64:65], v[52:53]
	v_add_f64 v[76:77], v[40:41], v[36:37]
	v_add_f64 v[78:79], v[64:65], -v[52:53]
	v_add_f64 v[80:81], v[40:41], -v[36:37]
	;; [unrolled: 1-line block ×4, first 2 shown]
	v_add_f64 v[28:29], v[28:29], v[44:45]
	v_add_f64 v[30:31], v[30:31], v[48:49]
	v_add_f64 v[64:65], v[42:43], -v[64:65]
	v_add_f64 v[40:41], v[32:33], -v[40:41]
	v_add_f64 v[42:43], v[74:75], v[42:43]
	v_add_f64 v[32:33], v[76:77], v[32:33]
	v_mul_f64 v[34:35], v[34:35], s[8:9]
	v_mul_f64 v[38:39], v[38:39], s[8:9]
	;; [unrolled: 1-line block ×8, first 2 shown]
	v_mov_b64_e32 v[82:83], v[28:29]
	v_mov_b64_e32 v[84:85], v[30:31]
	v_fmac_f64_e32 v[82:83], s[12:13], v[44:45]
	v_fmac_f64_e32 v[84:85], s[12:13], v[48:49]
	v_fma_f64 v[44:45], v[70:71], s[16:17], -v[54:55]
	v_fma_f64 v[48:49], v[72:73], s[16:17], -v[66:67]
	;; [unrolled: 1-line block ×3, first 2 shown]
	v_fmac_f64_e32 v[34:35], s[10:11], v[46:47]
	v_fma_f64 v[46:47], v[72:73], s[20:21], -v[38:39]
	v_fmac_f64_e32 v[38:39], s[10:11], v[50:51]
	v_fma_f64 v[50:51], v[52:53], s[6:7], -v[74:75]
	;; [unrolled: 2-line block ×4, first 2 shown]
	v_fma_f64 v[66:67], v[40:41], s[22:23], -v[80:81]
	v_add_f64 v[70:71], v[34:35], v[82:83]
	v_add_f64 v[72:73], v[38:39], v[84:85]
	;; [unrolled: 1-line block ×6, first 2 shown]
	v_fmac_f64_e32 v[74:75], s[18:19], v[42:43]
	v_fmac_f64_e32 v[76:77], s[18:19], v[32:33]
	;; [unrolled: 1-line block ×6, first 2 shown]
	v_add_f64 v[32:33], v[76:77], v[70:71]
	v_add_f64 v[34:35], v[72:73], -v[74:75]
	v_add_f64 v[36:37], v[66:67], v[54:55]
	v_add_f64 v[38:39], v[78:79], -v[64:65]
	v_add_f64 v[40:41], v[44:45], -v[52:53]
	v_add_f64 v[42:43], v[50:51], v[48:49]
	v_add_f64 v[44:45], v[52:53], v[44:45]
	v_add_f64 v[46:47], v[48:49], -v[50:51]
	v_add_f64 v[48:49], v[54:55], -v[66:67]
	v_add_f64 v[50:51], v[64:65], v[78:79]
	v_add_f64 v[52:53], v[70:71], -v[76:77]
	v_add_f64 v[54:55], v[74:75], v[72:73]
	ds_write_b128 v59, v[28:31]
	ds_write_b128 v59, v[32:35] offset:416
	ds_write_b128 v59, v[36:39] offset:832
	;; [unrolled: 1-line block ×6, first 2 shown]
	s_and_saveexec_b64 s[26:27], s[2:3]
	s_cbranch_execz .LBB0_23
; %bb.22:
	s_movk_i32 s2, 0x4ec5
	v_mul_u32_u24_sdwa v28, v62, s2 dst_sel:DWORD dst_unused:UNUSED_PAD src0_sel:WORD_0 src1_sel:DWORD
	v_lshrrev_b32_e32 v59, 19, v28
	v_mul_lo_u16_e32 v28, 26, v59
	v_sub_u16_e32 v61, v62, v28
	v_mul_u32_u24_e32 v28, 6, v61
	v_lshlrev_b32_e32 v52, 4, v28
	global_load_dwordx4 v[28:31], v52, s[4:5] offset:432
	global_load_dwordx4 v[32:35], v52, s[4:5] offset:416
	;; [unrolled: 1-line block ×6, first 2 shown]
	s_waitcnt vmcnt(5)
	v_mul_f64 v[52:53], v[10:11], v[30:31]
	s_waitcnt vmcnt(4)
	v_mul_f64 v[54:55], v[18:19], v[34:35]
	;; [unrolled: 2-line block ×6, first 2 shown]
	v_mul_f64 v[34:35], v[16:17], v[34:35]
	v_mul_f64 v[30:31], v[8:9], v[30:31]
	;; [unrolled: 1-line block ×6, first 2 shown]
	v_fmac_f64_e32 v[52:53], v[8:9], v[28:29]
	v_fmac_f64_e32 v[54:55], v[16:17], v[32:33]
	;; [unrolled: 1-line block ×6, first 2 shown]
	v_fma_f64 v[0:1], v[18:19], v[32:33], -v[34:35]
	v_fma_f64 v[4:5], v[10:11], v[28:29], -v[30:31]
	;; [unrolled: 1-line block ×6, first 2 shown]
	v_add_f64 v[16:17], v[52:53], -v[54:55]
	v_add_f64 v[18:19], v[64:65], -v[66:67]
	;; [unrolled: 1-line block ×3, first 2 shown]
	v_add_f64 v[22:23], v[0:1], v[4:5]
	v_add_f64 v[24:25], v[8:9], v[6:7]
	;; [unrolled: 1-line block ×6, first 2 shown]
	v_add_f64 v[0:1], v[4:5], -v[0:1]
	v_add_f64 v[8:9], v[8:9], -v[6:7]
	v_add_f64 v[34:35], v[10:11], -v[2:3]
	v_add_f64 v[2:3], v[16:17], v[18:19]
	v_add_f64 v[4:5], v[16:17], -v[18:19]
	v_add_f64 v[6:7], v[20:21], -v[16:17]
	;; [unrolled: 1-line block ×3, first 2 shown]
	v_add_f64 v[36:37], v[24:25], v[26:27]
	v_add_f64 v[42:43], v[30:31], v[32:33]
	v_add_f64 v[10:11], v[22:23], -v[24:25]
	v_add_f64 v[38:39], v[28:29], -v[30:31]
	;; [unrolled: 1-line block ×5, first 2 shown]
	v_mul_f64 v[30:31], v[4:5], s[14:15]
	v_mul_f64 v[4:5], v[16:17], s[8:9]
	v_add_f64 v[16:17], v[22:23], v[36:37]
	v_add_f64 v[28:29], v[28:29], v[42:43]
	;; [unrolled: 1-line block ×3, first 2 shown]
	v_add_f64 v[46:47], v[0:1], -v[8:9]
	v_add_f64 v[48:49], v[34:35], -v[0:1]
	;; [unrolled: 1-line block ×3, first 2 shown]
	v_add_f64 v[20:21], v[2:3], v[20:21]
	v_mul_f64 v[36:37], v[40:41], s[8:9]
	v_add_f64 v[2:3], v[14:15], v[16:17]
	v_add_f64 v[0:1], v[12:13], v[28:29]
	v_fma_f64 v[14:15], s[10:11], v[38:39], v[36:37]
	v_fma_f64 v[12:13], v[26:27], s[20:21], -v[36:37]
	v_mov_b64_e32 v[36:37], v[2:3]
	v_mov_b64_e32 v[50:51], v[0:1]
	v_mul_f64 v[32:33], v[10:11], s[10:11]
	v_add_f64 v[40:41], v[44:45], v[34:35]
	v_mul_f64 v[42:43], v[46:47], s[14:15]
	v_mul_f64 v[44:45], v[18:19], s[6:7]
	v_fma_f64 v[46:47], s[24:25], v[6:7], v[30:31]
	v_fma_f64 v[10:11], s[10:11], v[10:11], v[4:5]
	v_fmac_f64_e32 v[36:37], s[12:13], v[16:17]
	v_fmac_f64_e32 v[50:51], s[12:13], v[28:29]
	v_mul_f64 v[22:23], v[38:39], s[10:11]
	v_fma_f64 v[44:45], v[6:7], s[22:23], -v[44:45]
	v_fmac_f64_e32 v[46:47], s[18:19], v[20:21]
	v_add_f64 v[28:29], v[10:11], v[36:37]
	v_add_f64 v[64:65], v[12:13], v[50:51]
	v_add_f64 v[12:13], v[8:9], -v[34:35]
	v_fma_f64 v[18:19], v[18:19], s[6:7], -v[30:31]
	v_fmac_f64_e32 v[44:45], s[18:19], v[20:21]
	v_add_f64 v[6:7], v[46:47], v[28:29]
	v_mul_f64 v[8:9], v[12:13], s[6:7]
	v_fmac_f64_e32 v[18:19], s[18:19], v[20:21]
	v_fma_f64 v[20:21], v[12:13], s[6:7], -v[42:43]
	v_fma_f64 v[12:13], v[26:27], s[16:17], -v[22:23]
	v_add_f64 v[26:27], v[28:29], -v[46:47]
	v_mul_lo_u16_e32 v28, 0xb6, v59
	v_fma_f64 v[38:39], s[24:25], v[48:49], v[42:43]
	v_fma_f64 v[4:5], v[24:25], s[20:21], -v[4:5]
	v_add_f64 v[52:53], v[14:15], v[50:51]
	v_fma_f64 v[34:35], v[48:49], s[22:23], -v[8:9]
	v_fma_f64 v[14:15], v[24:25], s[16:17], -v[32:33]
	v_lshlrev_b32_e32 v29, 4, v61
	v_lshlrev_b32_e32 v28, 4, v28
	v_fmac_f64_e32 v[38:39], s[18:19], v[40:41]
	v_add_f64 v[54:55], v[4:5], v[36:37]
	v_fmac_f64_e32 v[34:35], s[18:19], v[40:41]
	v_add_f64 v[16:17], v[14:15], v[36:37]
	;; [unrolled: 2-line block ×3, first 2 shown]
	v_add3_u32 v28, 0, v29, v28
	v_add_f64 v[4:5], v[52:53], -v[38:39]
	v_add_f64 v[10:11], v[44:45], v[54:55]
	v_add_f64 v[8:9], v[64:65], -v[34:35]
	v_add_f64 v[14:15], v[16:17], -v[18:19]
	v_add_f64 v[12:13], v[20:21], v[22:23]
	v_add_f64 v[18:19], v[18:19], v[16:17]
	v_add_f64 v[16:17], v[22:23], -v[20:21]
	v_add_f64 v[22:23], v[54:55], -v[44:45]
	v_add_f64 v[20:21], v[34:35], v[64:65]
	v_add_f64 v[24:25], v[38:39], v[52:53]
	ds_write_b128 v28, v[0:3]
	ds_write_b128 v28, v[24:27] offset:416
	ds_write_b128 v28, v[20:23] offset:832
	;; [unrolled: 1-line block ×6, first 2 shown]
.LBB0_23:
	s_or_b64 exec, exec, s[26:27]
	v_mul_u32_u24_e32 v0, 10, v56
	v_lshlrev_b32_e32 v4, 4, v0
	s_waitcnt lgkmcnt(0)
	s_barrier
	global_load_dwordx4 v[0:3], v4, s[4:5] offset:2880
	global_load_dwordx4 v[8:11], v4, s[4:5] offset:2896
	;; [unrolled: 1-line block ×10, first 2 shown]
	v_accvgpr_read_b32 v4, a6
	v_lshl_add_u32 v26, v4, 4, 0
	v_accvgpr_read_b32 v4, a4
	ds_read_b128 v[70:73], v58
	v_lshl_add_u32 v25, v4, 4, 0
	v_accvgpr_read_b32 v4, a2
	v_lshl_add_u32 v27, v68, 4, 0
	v_lshl_add_u32 v24, v4, 4, 0
	ds_read_b128 v[74:77], v60
	ds_read_b128 v[78:81], v60 offset:17472
	ds_read_b128 v[82:85], v60 offset:20384
	;; [unrolled: 1-line block ×5, first 2 shown]
	ds_read_b128 v[98:101], v27
	ds_read_b128 v[102:105], v26
	;; [unrolled: 1-line block ×4, first 2 shown]
	s_mov_b32 s14, 0xf8bb580b
	s_mov_b32 s6, 0x8eee2c13
	;; [unrolled: 1-line block ×30, first 2 shown]
	s_waitcnt lgkmcnt(0)
	s_barrier
	s_add_u32 s4, s4, 0x7d00
	s_addc_u32 s5, s5, 0
	s_waitcnt vmcnt(9)
	v_mul_f64 v[64:65], v[72:73], v[2:3]
	v_mul_f64 v[2:3], v[70:71], v[2:3]
	s_waitcnt vmcnt(8)
	v_mul_f64 v[66:67], v[100:101], v[10:11]
	v_mul_f64 v[10:11], v[98:99], v[10:11]
	;; [unrolled: 3-line block ×3, first 2 shown]
	v_fmac_f64_e32 v[64:65], v[70:71], v[0:1]
	v_fma_f64 v[0:1], v[72:73], v[0:1], -v[2:3]
	v_mul_f64 v[20:21], v[104:105], v[18:19]
	s_waitcnt vmcnt(0)
	v_mul_f64 v[116:117], v[96:97], v[54:55]
	v_mul_f64 v[54:55], v[94:95], v[54:55]
	;; [unrolled: 1-line block ×7, first 2 shown]
	v_fmac_f64_e32 v[66:67], v[98:99], v[8:9]
	v_fma_f64 v[70:71], v[100:101], v[8:9], -v[10:11]
	v_fmac_f64_e32 v[4:5], v[110:111], v[32:33]
	v_fma_f64 v[8:9], v[112:113], v[32:33], -v[34:35]
	v_fma_f64 v[2:3], v[96:97], v[52:53], -v[54:55]
	v_add_f64 v[32:33], v[74:75], v[64:65]
	v_add_f64 v[34:35], v[76:77], v[0:1]
	v_mul_f64 v[12:13], v[108:109], v[30:31]
	v_mul_f64 v[30:31], v[106:107], v[30:31]
	v_fma_f64 v[72:73], v[104:105], v[16:17], -v[18:19]
	v_fma_f64 v[10:11], v[80:81], v[36:37], -v[38:39]
	;; [unrolled: 1-line block ×3, first 2 shown]
	v_add_f64 v[38:39], v[0:1], v[2:3]
	v_add_f64 v[42:43], v[0:1], -v[2:3]
	v_add_f64 v[0:1], v[32:33], v[66:67]
	v_add_f64 v[32:33], v[34:35], v[70:71]
	v_fmac_f64_e32 v[20:21], v[102:103], v[16:17]
	v_fma_f64 v[16:17], v[108:109], v[28:29], -v[30:31]
	v_add_f64 v[32:33], v[32:33], v[72:73]
	v_add_f64 v[32:33], v[32:33], v[16:17]
	;; [unrolled: 1-line block ×3, first 2 shown]
	v_mul_f64 v[22:23], v[88:89], v[46:47]
	v_mul_f64 v[46:47], v[86:87], v[46:47]
	v_add_f64 v[32:33], v[32:33], v[10:11]
	v_mul_f64 v[114:115], v[92:93], v[50:51]
	v_mul_f64 v[50:51], v[90:91], v[50:51]
	v_fmac_f64_e32 v[12:13], v[106:107], v[28:29]
	v_fma_f64 v[28:29], v[88:89], v[44:45], -v[46:47]
	v_add_f64 v[32:33], v[32:33], v[18:19]
	v_fma_f64 v[30:31], v[92:93], v[48:49], -v[50:51]
	v_add_f64 v[32:33], v[32:33], v[28:29]
	v_fmac_f64_e32 v[116:117], v[94:95], v[52:53]
	v_add_f64 v[32:33], v[32:33], v[30:31]
	v_fmac_f64_e32 v[6:7], v[78:79], v[36:37]
	v_fmac_f64_e32 v[14:15], v[82:83], v[40:41]
	;; [unrolled: 1-line block ×3, first 2 shown]
	v_add_f64 v[36:37], v[64:65], v[116:117]
	v_add_f64 v[40:41], v[64:65], -v[116:117]
	v_add_f64 v[2:3], v[32:33], v[2:3]
	v_mul_f64 v[32:33], v[42:43], s[14:15]
	v_mul_f64 v[48:49], v[42:43], s[6:7]
	;; [unrolled: 1-line block ×5, first 2 shown]
	v_fmac_f64_e32 v[22:23], v[86:87], v[44:45]
	v_fma_f64 v[34:35], s[16:17], v[36:37], v[32:33]
	v_mul_f64 v[44:45], v[38:39], s[16:17]
	v_fma_f64 v[32:33], v[36:37], s[16:17], -v[32:33]
	v_fma_f64 v[50:51], s[8:9], v[36:37], v[48:49]
	v_mul_f64 v[52:53], v[38:39], s[8:9]
	v_fma_f64 v[48:49], v[36:37], s[8:9], -v[48:49]
	v_fma_f64 v[78:79], s[12:13], v[36:37], v[64:65]
	v_mul_f64 v[80:81], v[38:39], s[12:13]
	v_fma_f64 v[64:65], v[36:37], s[12:13], -v[64:65]
	v_fma_f64 v[86:87], s[24:25], v[36:37], v[84:85]
	v_mul_f64 v[88:89], v[38:39], s[24:25]
	v_fma_f64 v[84:85], v[36:37], s[24:25], -v[84:85]
	v_fma_f64 v[92:93], s[30:31], v[36:37], v[42:43]
	v_mul_f64 v[38:39], v[38:39], s[30:31]
	v_fma_f64 v[36:37], v[36:37], s[30:31], -v[42:43]
	v_add_f64 v[42:43], v[70:71], v[30:31]
	v_add_f64 v[30:31], v[70:71], -v[30:31]
	v_fma_f64 v[46:47], s[18:19], v[40:41], v[44:45]
	v_fmac_f64_e32 v[44:45], s[14:15], v[40:41]
	v_fma_f64 v[54:55], s[10:11], v[40:41], v[52:53]
	v_fmac_f64_e32 v[52:53], s[6:7], v[40:41]
	;; [unrolled: 2-line block ×5, first 2 shown]
	v_add_f64 v[40:41], v[66:67], v[114:115]
	v_mul_f64 v[70:71], v[30:31], s[6:7]
	v_add_f64 v[34:35], v[74:75], v[34:35]
	v_add_f64 v[32:33], v[74:75], v[32:33]
	;; [unrolled: 1-line block ×10, first 2 shown]
	v_fma_f64 v[74:75], s[8:9], v[40:41], v[70:71]
	v_add_f64 v[66:67], v[66:67], -v[114:115]
	v_add_f64 v[34:35], v[74:75], v[34:35]
	v_mul_f64 v[74:75], v[42:43], s[8:9]
	v_fma_f64 v[70:71], v[40:41], s[8:9], -v[70:71]
	v_add_f64 v[46:47], v[76:77], v[46:47]
	v_add_f64 v[44:45], v[76:77], v[44:45]
	;; [unrolled: 1-line block ×10, first 2 shown]
	v_fma_f64 v[76:77], s[10:11], v[66:67], v[74:75]
	v_add_f64 v[32:33], v[70:71], v[32:33]
	v_fmac_f64_e32 v[74:75], s[6:7], v[66:67]
	v_mul_f64 v[70:71], v[30:31], s[22:23]
	v_add_f64 v[44:45], v[74:75], v[44:45]
	v_fma_f64 v[74:75], s[24:25], v[40:41], v[70:71]
	v_add_f64 v[50:51], v[74:75], v[50:51]
	v_mul_f64 v[74:75], v[42:43], s[24:25]
	v_fma_f64 v[70:71], v[40:41], s[24:25], -v[70:71]
	v_add_f64 v[46:47], v[76:77], v[46:47]
	v_fma_f64 v[76:77], s[26:27], v[66:67], v[74:75]
	v_add_f64 v[48:49], v[70:71], v[48:49]
	v_fmac_f64_e32 v[74:75], s[22:23], v[66:67]
	v_mul_f64 v[70:71], v[30:31], s[34:35]
	v_add_f64 v[54:55], v[76:77], v[54:55]
	v_add_f64 v[52:53], v[74:75], v[52:53]
	v_fma_f64 v[74:75], s[30:31], v[40:41], v[70:71]
	v_mul_f64 v[76:77], v[42:43], s[30:31]
	v_add_f64 v[0:1], v[0:1], v[20:21]
	v_add_f64 v[74:75], v[74:75], v[78:79]
	v_fma_f64 v[78:79], s[28:29], v[66:67], v[76:77]
	v_fma_f64 v[70:71], v[40:41], s[30:31], -v[70:71]
	v_fmac_f64_e32 v[76:77], s[34:35], v[66:67]
	v_add_f64 v[0:1], v[0:1], v[12:13]
	v_add_f64 v[64:65], v[70:71], v[64:65]
	;; [unrolled: 1-line block ×3, first 2 shown]
	v_mul_f64 v[76:77], v[30:31], s[20:21]
	v_add_f64 v[0:1], v[0:1], v[4:5]
	v_add_f64 v[78:79], v[78:79], v[82:83]
	v_fma_f64 v[80:81], s[12:13], v[40:41], v[76:77]
	v_mul_f64 v[82:83], v[42:43], s[12:13]
	v_add_f64 v[0:1], v[0:1], v[6:7]
	v_add_f64 v[80:81], v[80:81], v[86:87]
	v_fma_f64 v[86:87], s[2:3], v[66:67], v[82:83]
	v_fma_f64 v[76:77], v[40:41], s[12:13], -v[76:77]
	v_fmac_f64_e32 v[82:83], s[20:21], v[66:67]
	v_mul_f64 v[30:31], v[30:31], s[18:19]
	v_mul_f64 v[42:43], v[42:43], s[16:17]
	v_add_f64 v[0:1], v[0:1], v[14:15]
	v_add_f64 v[76:77], v[76:77], v[84:85]
	;; [unrolled: 1-line block ×3, first 2 shown]
	v_fma_f64 v[84:85], s[16:17], v[40:41], v[30:31]
	v_fma_f64 v[88:89], s[14:15], v[66:67], v[42:43]
	v_fma_f64 v[30:31], v[40:41], s[16:17], -v[30:31]
	v_fmac_f64_e32 v[42:43], s[18:19], v[66:67]
	v_add_f64 v[0:1], v[0:1], v[22:23]
	v_add_f64 v[30:31], v[30:31], v[36:37]
	;; [unrolled: 1-line block ×4, first 2 shown]
	v_add_f64 v[20:21], v[20:21], -v[22:23]
	v_add_f64 v[22:23], v[72:73], -v[28:29]
	v_add_f64 v[40:41], v[72:73], v[28:29]
	v_mul_f64 v[28:29], v[22:23], s[2:3]
	v_fma_f64 v[42:43], s[12:13], v[38:39], v[28:29]
	v_add_f64 v[34:35], v[42:43], v[34:35]
	v_mul_f64 v[42:43], v[40:41], s[12:13]
	v_fma_f64 v[66:67], s[20:21], v[20:21], v[42:43]
	v_fma_f64 v[28:29], v[38:39], s[12:13], -v[28:29]
	v_fmac_f64_e32 v[42:43], s[2:3], v[20:21]
	v_add_f64 v[28:29], v[28:29], v[32:33]
	v_add_f64 v[32:33], v[42:43], v[44:45]
	v_mul_f64 v[42:43], v[22:23], s[34:35]
	v_fma_f64 v[44:45], s[30:31], v[38:39], v[42:43]
	v_add_f64 v[44:45], v[44:45], v[50:51]
	v_mul_f64 v[50:51], v[40:41], s[30:31]
	v_add_f64 v[46:47], v[66:67], v[46:47]
	v_fma_f64 v[66:67], s[28:29], v[20:21], v[50:51]
	v_fma_f64 v[42:43], v[38:39], s[30:31], -v[42:43]
	v_fmac_f64_e32 v[50:51], s[34:35], v[20:21]
	v_add_f64 v[54:55], v[66:67], v[54:55]
	v_add_f64 v[42:43], v[42:43], v[48:49]
	;; [unrolled: 1-line block ×3, first 2 shown]
	v_mul_f64 v[50:51], v[22:23], s[10:11]
	v_mul_f64 v[66:67], v[40:41], s[8:9]
	v_fma_f64 v[52:53], s[8:9], v[38:39], v[50:51]
	v_fma_f64 v[72:73], s[6:7], v[20:21], v[66:67]
	v_fma_f64 v[50:51], v[38:39], s[8:9], -v[50:51]
	v_fmac_f64_e32 v[66:67], s[10:11], v[20:21]
	v_add_f64 v[50:51], v[50:51], v[64:65]
	v_add_f64 v[64:65], v[66:67], v[70:71]
	v_mul_f64 v[66:67], v[22:23], s[14:15]
	v_fma_f64 v[70:71], s[16:17], v[38:39], v[66:67]
	v_fma_f64 v[66:67], v[38:39], s[16:17], -v[66:67]
	v_mul_f64 v[22:23], v[22:23], s[22:23]
	v_add_f64 v[52:53], v[52:53], v[74:75]
	v_mul_f64 v[74:75], v[40:41], s[16:17]
	v_add_f64 v[66:67], v[66:67], v[76:77]
	v_fma_f64 v[76:77], s[24:25], v[38:39], v[22:23]
	v_mul_f64 v[40:41], v[40:41], s[24:25]
	v_fma_f64 v[22:23], v[38:39], s[24:25], -v[22:23]
	v_add_f64 v[70:71], v[70:71], v[80:81]
	v_fma_f64 v[80:81], s[26:27], v[20:21], v[40:41]
	v_add_f64 v[22:23], v[22:23], v[30:31]
	v_fmac_f64_e32 v[40:41], s[22:23], v[20:21]
	v_add_f64 v[30:31], v[12:13], v[14:15]
	v_add_f64 v[12:13], v[12:13], -v[14:15]
	v_add_f64 v[14:15], v[16:17], -v[18:19]
	v_add_f64 v[72:73], v[72:73], v[78:79]
	v_fma_f64 v[78:79], s[18:19], v[20:21], v[74:75]
	v_fmac_f64_e32 v[74:75], s[14:15], v[20:21]
	v_add_f64 v[20:21], v[40:41], v[36:37]
	v_add_f64 v[36:37], v[16:17], v[18:19]
	v_mul_f64 v[16:17], v[14:15], s[22:23]
	v_fma_f64 v[18:19], s[24:25], v[30:31], v[16:17]
	v_add_f64 v[18:19], v[18:19], v[34:35]
	v_mul_f64 v[34:35], v[36:37], s[24:25]
	v_fma_f64 v[38:39], s[26:27], v[12:13], v[34:35]
	v_fma_f64 v[16:17], v[30:31], s[24:25], -v[16:17]
	v_fmac_f64_e32 v[34:35], s[22:23], v[12:13]
	v_add_f64 v[16:17], v[16:17], v[28:29]
	v_add_f64 v[28:29], v[34:35], v[32:33]
	v_mul_f64 v[32:33], v[14:15], s[20:21]
	v_fma_f64 v[34:35], s[12:13], v[30:31], v[32:33]
	v_mul_f64 v[40:41], v[36:37], s[12:13]
	v_fma_f64 v[32:33], v[30:31], s[12:13], -v[32:33]
	v_add_f64 v[34:35], v[34:35], v[44:45]
	v_fma_f64 v[44:45], s[2:3], v[12:13], v[40:41]
	v_add_f64 v[32:33], v[32:33], v[42:43]
	v_fmac_f64_e32 v[40:41], s[20:21], v[12:13]
	v_mul_f64 v[42:43], v[14:15], s[14:15]
	v_add_f64 v[38:39], v[38:39], v[46:47]
	v_add_f64 v[40:41], v[40:41], v[48:49]
	v_fma_f64 v[46:47], s[16:17], v[30:31], v[42:43]
	v_mul_f64 v[48:49], v[36:37], s[16:17]
	v_add_f64 v[46:47], v[46:47], v[52:53]
	v_fma_f64 v[52:53], s[18:19], v[12:13], v[48:49]
	v_fma_f64 v[42:43], v[30:31], s[16:17], -v[42:43]
	v_fmac_f64_e32 v[48:49], s[14:15], v[12:13]
	v_add_f64 v[88:89], v[88:89], v[94:95]
	v_add_f64 v[42:43], v[42:43], v[50:51]
	v_add_f64 v[48:49], v[48:49], v[64:65]
	v_mul_f64 v[50:51], v[14:15], s[28:29]
	v_mul_f64 v[64:65], v[36:37], s[30:31]
	;; [unrolled: 1-line block ×3, first 2 shown]
	v_add_f64 v[86:87], v[86:87], v[90:91]
	v_add_f64 v[84:85], v[84:85], v[92:93]
	;; [unrolled: 1-line block ×5, first 2 shown]
	v_fma_f64 v[54:55], s[30:31], v[30:31], v[50:51]
	v_fma_f64 v[72:73], s[6:7], v[12:13], v[36:37]
	v_add_f64 v[78:79], v[78:79], v[86:87]
	v_add_f64 v[76:77], v[76:77], v[84:85]
	;; [unrolled: 1-line block ×3, first 2 shown]
	v_fma_f64 v[70:71], s[34:35], v[12:13], v[64:65]
	v_add_f64 v[72:73], v[72:73], v[80:81]
	v_add_f64 v[80:81], v[8:9], v[10:11]
	v_add_f64 v[84:85], v[8:9], -v[10:11]
	v_add_f64 v[74:75], v[74:75], v[82:83]
	v_add_f64 v[70:71], v[70:71], v[78:79]
	;; [unrolled: 1-line block ×3, first 2 shown]
	v_add_f64 v[82:83], v[4:5], -v[6:7]
	v_mul_f64 v[8:9], v[84:85], s[28:29]
	v_mul_f64 v[10:11], v[80:81], s[30:31]
	v_fma_f64 v[50:51], v[30:31], s[30:31], -v[50:51]
	v_mul_f64 v[14:15], v[14:15], s[10:11]
	v_fma_f64 v[4:5], s[30:31], v[78:79], v[8:9]
	v_fma_f64 v[6:7], s[34:35], v[82:83], v[10:11]
	v_fmac_f64_e32 v[10:11], s[28:29], v[82:83]
	v_add_f64 v[50:51], v[50:51], v[66:67]
	v_fmac_f64_e32 v[64:65], s[28:29], v[12:13]
	v_fma_f64 v[66:67], s[8:9], v[30:31], v[14:15]
	v_fma_f64 v[14:15], v[30:31], s[8:9], -v[14:15]
	v_fmac_f64_e32 v[36:37], s[10:11], v[12:13]
	v_add_f64 v[4:5], v[4:5], v[18:19]
	v_fma_f64 v[8:9], v[78:79], s[30:31], -v[8:9]
	v_add_f64 v[10:11], v[10:11], v[28:29]
	v_mul_f64 v[18:19], v[80:81], s[16:17]
	v_mul_f64 v[28:29], v[84:85], s[22:23]
	v_add_f64 v[64:65], v[64:65], v[74:75]
	v_add_f64 v[66:67], v[66:67], v[76:77]
	;; [unrolled: 1-line block ×5, first 2 shown]
	v_mul_f64 v[16:17], v[84:85], s[18:19]
	v_fma_f64 v[14:15], s[14:15], v[82:83], v[18:19]
	v_fma_f64 v[20:21], s[24:25], v[78:79], v[28:29]
	v_add_f64 v[0:1], v[0:1], v[114:115]
	v_add_f64 v[6:7], v[6:7], v[38:39]
	v_fma_f64 v[12:13], s[16:17], v[78:79], v[16:17]
	v_add_f64 v[14:15], v[14:15], v[44:45]
	v_fma_f64 v[16:17], v[78:79], s[16:17], -v[16:17]
	v_fmac_f64_e32 v[18:19], s[18:19], v[82:83]
	v_add_f64 v[20:21], v[20:21], v[46:47]
	v_mul_f64 v[30:31], v[80:81], s[24:25]
	v_fma_f64 v[28:29], v[78:79], s[24:25], -v[28:29]
	v_mul_f64 v[36:37], v[84:85], s[10:11]
	v_mul_f64 v[38:39], v[80:81], s[8:9]
	;; [unrolled: 1-line block ×4, first 2 shown]
	v_add_f64 v[0:1], v[0:1], v[116:117]
	v_add_f64 v[12:13], v[12:13], v[34:35]
	;; [unrolled: 1-line block ×4, first 2 shown]
	v_fma_f64 v[22:23], s[26:27], v[82:83], v[30:31]
	v_add_f64 v[28:29], v[28:29], v[42:43]
	v_fmac_f64_e32 v[30:31], s[22:23], v[82:83]
	v_fma_f64 v[32:33], s[8:9], v[78:79], v[36:37]
	v_fma_f64 v[34:35], s[6:7], v[82:83], v[38:39]
	v_fma_f64 v[36:37], v[78:79], s[8:9], -v[36:37]
	v_fmac_f64_e32 v[38:39], s[10:11], v[82:83]
	v_fma_f64 v[40:41], s[12:13], v[78:79], v[44:45]
	v_fma_f64 v[42:43], s[20:21], v[82:83], v[46:47]
	v_fma_f64 v[44:45], v[78:79], s[12:13], -v[44:45]
	v_fmac_f64_e32 v[46:47], s[2:3], v[82:83]
	v_add_f64 v[22:23], v[22:23], v[52:53]
	v_add_f64 v[30:31], v[30:31], v[48:49]
	;; [unrolled: 1-line block ×10, first 2 shown]
	ds_write_b128 v60, v[0:3]
	ds_write_b128 v60, v[4:7] offset:2912
	ds_write_b128 v60, v[12:15] offset:5824
	;; [unrolled: 1-line block ×10, first 2 shown]
	s_waitcnt lgkmcnt(0)
	s_barrier
	ds_read_b128 v[4:7], v60
	v_sub_u32_e32 v10, 0, v57
	v_cmp_ne_u32_e64 s[2:3], 0, v56
                                        ; implicit-def: $vgpr2_vgpr3
                                        ; implicit-def: $vgpr8_vgpr9
	s_and_saveexec_b64 s[6:7], s[2:3]
	s_xor_b64 s[2:3], exec, s[6:7]
	s_cbranch_execz .LBB0_25
; %bb.24:
	v_mov_b32_e32 v57, 0
	v_lshl_add_u64 v[0:1], v[56:57], 4, s[4:5]
	global_load_dwordx4 v[12:15], v[0:1], off
	ds_read_b128 v[0:3], v10 offset:32032
	s_waitcnt lgkmcnt(0)
	v_add_f64 v[16:17], v[4:5], v[0:1]
	v_add_f64 v[0:1], v[4:5], -v[0:1]
	v_add_f64 v[8:9], v[6:7], v[2:3]
	v_add_f64 v[2:3], v[6:7], -v[2:3]
	v_mul_f64 v[6:7], v[0:1], 0.5
	v_mul_f64 v[0:1], v[2:3], 0.5
	;; [unrolled: 1-line block ×3, first 2 shown]
	s_waitcnt vmcnt(0)
	v_mul_f64 v[2:3], v[6:7], v[14:15]
	v_fma_f64 v[18:19], 0.5, v[16:17], v[2:3]
	v_fma_f64 v[8:9], v[4:5], v[14:15], v[0:1]
	v_fma_f64 v[14:15], v[4:5], v[14:15], -v[0:1]
	v_fma_f64 v[0:1], v[16:17], 0.5, -v[2:3]
	v_fmac_f64_e32 v[18:19], v[4:5], v[12:13]
	v_fma_f64 v[8:9], -v[12:13], v[6:7], v[8:9]
	v_fma_f64 v[0:1], -v[4:5], v[12:13], v[0:1]
	ds_write_b64 v60, v[18:19]
	v_fma_f64 v[2:3], -v[12:13], v[6:7], v[14:15]
                                        ; implicit-def: $vgpr4_vgpr5
.LBB0_25:
	s_andn2_saveexec_b64 s[2:3], s[2:3]
	s_cbranch_execz .LBB0_27
; %bb.26:
	v_mov_b32_e32 v11, 0
	ds_read_b64 v[2:3], v11 offset:16024
	v_mov_b64_e32 v[8:9], 0
	s_waitcnt lgkmcnt(1)
	v_add_f64 v[12:13], v[4:5], v[6:7]
	v_add_f64 v[0:1], v[4:5], -v[6:7]
	ds_write_b64 v60, v[12:13]
	s_waitcnt lgkmcnt(1)
	v_xor_b32_e32 v3, 0x80000000, v3
	ds_write_b64 v11, v[2:3] offset:16024
	v_mov_b64_e32 v[2:3], v[8:9]
.LBB0_27:
	s_or_b64 exec, exec, s[2:3]
	v_mov_b32_e32 v63, 0
	s_waitcnt lgkmcnt(0)
	v_lshl_add_u64 v[4:5], v[62:63], 4, s[4:5]
	global_load_dwordx4 v[4:7], v[4:5], off
	v_mov_b32_e32 v69, v63
	v_lshl_add_u64 v[12:13], v[68:69], 4, s[4:5]
	global_load_dwordx4 v[12:15], v[12:13], off
	v_accvgpr_read_b32 v16, a6
	v_mov_b32_e32 v17, v63
	v_lshl_add_u64 v[16:17], v[16:17], 4, s[4:5]
	global_load_dwordx4 v[16:19], v[16:17], off
	ds_write_b64 v60, v[8:9] offset:8
	ds_write_b128 v10, v[0:3] offset:32032
	v_accvgpr_read_b32 v8, a4
	v_mov_b32_e32 v9, v63
	v_lshl_add_u64 v[8:9], v[8:9], 4, s[4:5]
	ds_read_b128 v[0:3], v58
	ds_read_b128 v[20:23], v10 offset:29120
	global_load_dwordx4 v[28:31], v[8:9], off
	s_waitcnt lgkmcnt(0)
	v_add_f64 v[8:9], v[0:1], v[20:21]
	v_add_f64 v[0:1], v[0:1], -v[20:21]
	v_add_f64 v[32:33], v[2:3], v[22:23]
	v_add_f64 v[2:3], v[2:3], -v[22:23]
	v_mul_f64 v[22:23], v[0:1], 0.5
	v_mul_f64 v[20:21], v[32:33], 0.5
	v_mul_f64 v[0:1], v[2:3], 0.5
	s_waitcnt vmcnt(3)
	v_mul_f64 v[32:33], v[22:23], v[6:7]
	v_fma_f64 v[2:3], v[20:21], v[6:7], v[0:1]
	v_fma_f64 v[6:7], v[20:21], v[6:7], -v[0:1]
	v_fma_f64 v[0:1], 0.5, v[8:9], v[32:33]
	v_fma_f64 v[2:3], -v[4:5], v[22:23], v[2:3]
	v_fma_f64 v[8:9], v[8:9], 0.5, -v[32:33]
	v_fmac_f64_e32 v[0:1], v[20:21], v[4:5]
	v_fma_f64 v[6:7], -v[4:5], v[22:23], v[6:7]
	v_fma_f64 v[4:5], -v[20:21], v[4:5], v[8:9]
	ds_write_b128 v58, v[0:3]
	ds_write_b128 v10, v[4:7] offset:29120
	ds_read_b128 v[0:3], v27
	ds_read_b128 v[4:7], v10 offset:26208
	s_waitcnt lgkmcnt(0)
	v_add_f64 v[8:9], v[0:1], v[4:5]
	v_add_f64 v[0:1], v[0:1], -v[4:5]
	v_add_f64 v[20:21], v[2:3], v[6:7]
	v_add_f64 v[2:3], v[2:3], -v[6:7]
	v_mul_f64 v[6:7], v[0:1], 0.5
	v_mul_f64 v[4:5], v[20:21], 0.5
	v_mul_f64 v[0:1], v[2:3], 0.5
	s_waitcnt vmcnt(2)
	v_mul_f64 v[20:21], v[6:7], v[14:15]
	v_fma_f64 v[2:3], v[4:5], v[14:15], v[0:1]
	v_fma_f64 v[14:15], v[4:5], v[14:15], -v[0:1]
	v_fma_f64 v[0:1], 0.5, v[8:9], v[20:21]
	v_fma_f64 v[2:3], -v[12:13], v[6:7], v[2:3]
	v_fma_f64 v[8:9], v[8:9], 0.5, -v[20:21]
	v_fmac_f64_e32 v[0:1], v[4:5], v[12:13]
	v_fma_f64 v[6:7], -v[12:13], v[6:7], v[14:15]
	v_fma_f64 v[4:5], -v[4:5], v[12:13], v[8:9]
	ds_write_b128 v27, v[0:3]
	ds_write_b128 v10, v[4:7] offset:26208
	ds_read_b128 v[0:3], v26
	ds_read_b128 v[4:7], v10 offset:23296
	;; [unrolled: 22-line block ×3, first 2 shown]
	s_waitcnt lgkmcnt(0)
	v_add_f64 v[8:9], v[0:1], v[4:5]
	v_add_f64 v[0:1], v[0:1], -v[4:5]
	v_add_f64 v[12:13], v[2:3], v[6:7]
	v_add_f64 v[2:3], v[2:3], -v[6:7]
	v_mul_f64 v[6:7], v[0:1], 0.5
	v_mul_f64 v[4:5], v[12:13], 0.5
	;; [unrolled: 1-line block ×3, first 2 shown]
	s_waitcnt vmcnt(0)
	v_mul_f64 v[12:13], v[6:7], v[30:31]
	v_fma_f64 v[2:3], v[4:5], v[30:31], v[0:1]
	v_fma_f64 v[14:15], v[4:5], v[30:31], -v[0:1]
	v_fma_f64 v[0:1], 0.5, v[8:9], v[12:13]
	v_fma_f64 v[2:3], -v[28:29], v[6:7], v[2:3]
	v_fma_f64 v[8:9], v[8:9], 0.5, -v[12:13]
	v_fmac_f64_e32 v[0:1], v[4:5], v[28:29]
	v_fma_f64 v[6:7], -v[28:29], v[6:7], v[14:15]
	v_fma_f64 v[4:5], -v[4:5], v[28:29], v[8:9]
	ds_write_b128 v25, v[0:3]
	ds_write_b128 v10, v[4:7] offset:20384
	s_and_saveexec_b64 s[2:3], vcc
	s_cbranch_execz .LBB0_29
; %bb.28:
	v_accvgpr_read_b32 v62, a2
	v_lshl_add_u64 v[0:1], v[62:63], 4, s[4:5]
	global_load_dwordx4 v[0:3], v[0:1], off
	ds_read_b128 v[4:7], v24
	ds_read_b128 v[12:15], v10 offset:17472
	s_waitcnt lgkmcnt(0)
	v_add_f64 v[8:9], v[4:5], v[12:13]
	v_add_f64 v[4:5], v[4:5], -v[12:13]
	v_add_f64 v[16:17], v[6:7], v[14:15]
	v_add_f64 v[6:7], v[6:7], -v[14:15]
	v_mul_f64 v[14:15], v[4:5], 0.5
	v_mul_f64 v[12:13], v[16:17], 0.5
	;; [unrolled: 1-line block ×3, first 2 shown]
	s_waitcnt vmcnt(0)
	v_mul_f64 v[6:7], v[14:15], v[2:3]
	v_fma_f64 v[16:17], v[12:13], v[2:3], v[4:5]
	v_fma_f64 v[18:19], v[12:13], v[2:3], -v[4:5]
	v_fma_f64 v[2:3], 0.5, v[8:9], v[6:7]
	v_fma_f64 v[4:5], -v[0:1], v[14:15], v[16:17]
	v_fma_f64 v[6:7], v[8:9], 0.5, -v[6:7]
	v_fmac_f64_e32 v[2:3], v[12:13], v[0:1]
	v_fma_f64 v[8:9], -v[0:1], v[14:15], v[18:19]
	v_fma_f64 v[6:7], -v[12:13], v[0:1], v[6:7]
	ds_write_b128 v24, v[2:5]
	ds_write_b128 v10, v[6:9] offset:17472
.LBB0_29:
	s_or_b64 exec, exec, s[2:3]
	s_waitcnt lgkmcnt(0)
	s_barrier
	s_and_saveexec_b64 s[2:3], s[0:1]
	s_cbranch_execz .LBB0_32
; %bb.30:
	ds_read_b128 v[0:3], v60
	ds_read_b128 v[4:7], v60 offset:2912
	v_accvgpr_read_b32 v9, a1
	v_mov_b32_e32 v57, 0
	v_accvgpr_read_b32 v8, a0
	v_lshl_add_u64 v[8:9], v[56:57], 4, v[8:9]
	s_waitcnt lgkmcnt(1)
	global_store_dwordx4 v[8:9], v[0:3], off
	s_waitcnt lgkmcnt(0)
	global_store_dwordx4 v[8:9], v[4:7], off offset:2912
	ds_read_b128 v[0:3], v60 offset:5824
	ds_read_b128 v[4:7], v60 offset:8736
	v_add_co_u32_e32 v10, vcc, 0x1000, v8
	s_movk_i32 s0, 0xb5
	s_nop 0
	v_addc_co_u32_e32 v11, vcc, 0, v9, vcc
	s_waitcnt lgkmcnt(1)
	global_store_dwordx4 v[10:11], v[0:3], off offset:1728
	v_add_co_u32_e32 v10, vcc, 0x2000, v8
	ds_read_b128 v[0:3], v60 offset:11648
	s_nop 0
	v_addc_co_u32_e32 v11, vcc, 0, v9, vcc
	s_waitcnt lgkmcnt(1)
	global_store_dwordx4 v[10:11], v[4:7], off offset:544
	ds_read_b128 v[4:7], v60 offset:14560
	s_waitcnt lgkmcnt(1)
	global_store_dwordx4 v[10:11], v[0:3], off offset:3456
	s_nop 1
	v_add_co_u32_e32 v0, vcc, 0x3000, v8
	s_nop 1
	v_addc_co_u32_e32 v1, vcc, 0, v9, vcc
	s_waitcnt lgkmcnt(0)
	global_store_dwordx4 v[0:1], v[4:7], off offset:2272
	ds_read_b128 v[0:3], v60 offset:17472
	ds_read_b128 v[4:7], v60 offset:20384
	v_add_co_u32_e32 v10, vcc, 0x4000, v8
	s_nop 1
	v_addc_co_u32_e32 v11, vcc, 0, v9, vcc
	s_waitcnt lgkmcnt(1)
	global_store_dwordx4 v[10:11], v[0:3], off offset:1088
	s_waitcnt lgkmcnt(0)
	global_store_dwordx4 v[10:11], v[4:7], off offset:4000
	ds_read_b128 v[0:3], v60 offset:23296
	ds_read_b128 v[4:7], v60 offset:26208
	v_add_co_u32_e32 v10, vcc, 0x5000, v8
	s_nop 1
	v_addc_co_u32_e32 v11, vcc, 0, v9, vcc
	s_waitcnt lgkmcnt(1)
	global_store_dwordx4 v[10:11], v[0:3], off offset:2816
	s_nop 1
	v_add_co_u32_e32 v0, vcc, 0x6000, v8
	s_nop 1
	v_addc_co_u32_e32 v1, vcc, 0, v9, vcc
	s_waitcnt lgkmcnt(0)
	global_store_dwordx4 v[0:1], v[4:7], off offset:1632
	ds_read_b128 v[0:3], v60 offset:29120
	s_nop 0
	v_add_co_u32_e32 v4, vcc, 0x7000, v8
	s_nop 1
	v_addc_co_u32_e32 v5, vcc, 0, v9, vcc
	v_cmp_eq_u32_e32 vcc, s0, v56
	s_waitcnt lgkmcnt(0)
	global_store_dwordx4 v[4:5], v[0:3], off offset:448
	s_and_b64 exec, exec, vcc
	s_cbranch_execz .LBB0_32
; %bb.31:
	ds_read_b128 v[0:3], v57 offset:32032
	v_accvgpr_read_b32 v5, a1
	v_accvgpr_read_b32 v4, a0
	v_add_co_u32_e32 v4, vcc, 0x7000, v4
	s_nop 1
	v_addc_co_u32_e32 v5, vcc, 0, v5, vcc
	s_waitcnt lgkmcnt(0)
	global_store_dwordx4 v[4:5], v[0:3], off offset:3360
.LBB0_32:
	s_endpgm
	.section	.rodata,"a",@progbits
	.p2align	6, 0x0
	.amdhsa_kernel fft_rtc_back_len2002_factors_2_13_7_11_wgs_182_tpt_182_halfLds_dp_ip_CI_unitstride_sbrr_R2C_dirReg
		.amdhsa_group_segment_fixed_size 0
		.amdhsa_private_segment_fixed_size 0
		.amdhsa_kernarg_size 88
		.amdhsa_user_sgpr_count 2
		.amdhsa_user_sgpr_dispatch_ptr 0
		.amdhsa_user_sgpr_queue_ptr 0
		.amdhsa_user_sgpr_kernarg_segment_ptr 1
		.amdhsa_user_sgpr_dispatch_id 0
		.amdhsa_user_sgpr_kernarg_preload_length 0
		.amdhsa_user_sgpr_kernarg_preload_offset 0
		.amdhsa_user_sgpr_private_segment_size 0
		.amdhsa_uses_dynamic_stack 0
		.amdhsa_enable_private_segment 0
		.amdhsa_system_sgpr_workgroup_id_x 1
		.amdhsa_system_sgpr_workgroup_id_y 0
		.amdhsa_system_sgpr_workgroup_id_z 0
		.amdhsa_system_sgpr_workgroup_info 0
		.amdhsa_system_vgpr_workitem_id 0
		.amdhsa_next_free_vgpr 263
		.amdhsa_next_free_sgpr 46
		.amdhsa_accum_offset 256
		.amdhsa_reserve_vcc 1
		.amdhsa_float_round_mode_32 0
		.amdhsa_float_round_mode_16_64 0
		.amdhsa_float_denorm_mode_32 3
		.amdhsa_float_denorm_mode_16_64 3
		.amdhsa_dx10_clamp 1
		.amdhsa_ieee_mode 1
		.amdhsa_fp16_overflow 0
		.amdhsa_tg_split 0
		.amdhsa_exception_fp_ieee_invalid_op 0
		.amdhsa_exception_fp_denorm_src 0
		.amdhsa_exception_fp_ieee_div_zero 0
		.amdhsa_exception_fp_ieee_overflow 0
		.amdhsa_exception_fp_ieee_underflow 0
		.amdhsa_exception_fp_ieee_inexact 0
		.amdhsa_exception_int_div_zero 0
	.end_amdhsa_kernel
	.text
.Lfunc_end0:
	.size	fft_rtc_back_len2002_factors_2_13_7_11_wgs_182_tpt_182_halfLds_dp_ip_CI_unitstride_sbrr_R2C_dirReg, .Lfunc_end0-fft_rtc_back_len2002_factors_2_13_7_11_wgs_182_tpt_182_halfLds_dp_ip_CI_unitstride_sbrr_R2C_dirReg
                                        ; -- End function
	.section	.AMDGPU.csdata,"",@progbits
; Kernel info:
; codeLenInByte = 14140
; NumSgprs: 52
; NumVgprs: 256
; NumAgprs: 7
; TotalNumVgprs: 263
; ScratchSize: 0
; MemoryBound: 0
; FloatMode: 240
; IeeeMode: 1
; LDSByteSize: 0 bytes/workgroup (compile time only)
; SGPRBlocks: 6
; VGPRBlocks: 32
; NumSGPRsForWavesPerEU: 52
; NumVGPRsForWavesPerEU: 263
; AccumOffset: 256
; Occupancy: 1
; WaveLimiterHint : 1
; COMPUTE_PGM_RSRC2:SCRATCH_EN: 0
; COMPUTE_PGM_RSRC2:USER_SGPR: 2
; COMPUTE_PGM_RSRC2:TRAP_HANDLER: 0
; COMPUTE_PGM_RSRC2:TGID_X_EN: 1
; COMPUTE_PGM_RSRC2:TGID_Y_EN: 0
; COMPUTE_PGM_RSRC2:TGID_Z_EN: 0
; COMPUTE_PGM_RSRC2:TIDIG_COMP_CNT: 0
; COMPUTE_PGM_RSRC3_GFX90A:ACCUM_OFFSET: 63
; COMPUTE_PGM_RSRC3_GFX90A:TG_SPLIT: 0
	.text
	.p2alignl 6, 3212836864
	.fill 256, 4, 3212836864
	.type	__hip_cuid_7abec7e9b40217b5,@object ; @__hip_cuid_7abec7e9b40217b5
	.section	.bss,"aw",@nobits
	.globl	__hip_cuid_7abec7e9b40217b5
__hip_cuid_7abec7e9b40217b5:
	.byte	0                               ; 0x0
	.size	__hip_cuid_7abec7e9b40217b5, 1

	.ident	"AMD clang version 19.0.0git (https://github.com/RadeonOpenCompute/llvm-project roc-6.4.0 25133 c7fe45cf4b819c5991fe208aaa96edf142730f1d)"
	.section	".note.GNU-stack","",@progbits
	.addrsig
	.addrsig_sym __hip_cuid_7abec7e9b40217b5
	.amdgpu_metadata
---
amdhsa.kernels:
  - .agpr_count:     7
    .args:
      - .actual_access:  read_only
        .address_space:  global
        .offset:         0
        .size:           8
        .value_kind:     global_buffer
      - .offset:         8
        .size:           8
        .value_kind:     by_value
      - .actual_access:  read_only
        .address_space:  global
        .offset:         16
        .size:           8
        .value_kind:     global_buffer
      - .actual_access:  read_only
        .address_space:  global
        .offset:         24
        .size:           8
        .value_kind:     global_buffer
      - .offset:         32
        .size:           8
        .value_kind:     by_value
      - .actual_access:  read_only
        .address_space:  global
        .offset:         40
        .size:           8
        .value_kind:     global_buffer
      - .actual_access:  read_only
        .address_space:  global
        .offset:         48
        .size:           8
        .value_kind:     global_buffer
      - .offset:         56
        .size:           4
        .value_kind:     by_value
      - .actual_access:  read_only
        .address_space:  global
        .offset:         64
        .size:           8
        .value_kind:     global_buffer
      - .actual_access:  read_only
        .address_space:  global
        .offset:         72
        .size:           8
        .value_kind:     global_buffer
      - .address_space:  global
        .offset:         80
        .size:           8
        .value_kind:     global_buffer
    .group_segment_fixed_size: 0
    .kernarg_segment_align: 8
    .kernarg_segment_size: 88
    .language:       OpenCL C
    .language_version:
      - 2
      - 0
    .max_flat_workgroup_size: 182
    .name:           fft_rtc_back_len2002_factors_2_13_7_11_wgs_182_tpt_182_halfLds_dp_ip_CI_unitstride_sbrr_R2C_dirReg
    .private_segment_fixed_size: 0
    .sgpr_count:     52
    .sgpr_spill_count: 0
    .symbol:         fft_rtc_back_len2002_factors_2_13_7_11_wgs_182_tpt_182_halfLds_dp_ip_CI_unitstride_sbrr_R2C_dirReg.kd
    .uniform_work_group_size: 1
    .uses_dynamic_stack: false
    .vgpr_count:     263
    .vgpr_spill_count: 0
    .wavefront_size: 64
amdhsa.target:   amdgcn-amd-amdhsa--gfx950
amdhsa.version:
  - 1
  - 2
...

	.end_amdgpu_metadata
